;; amdgpu-corpus repo=ROCm/rocFFT kind=compiled arch=gfx1030 opt=O3
	.text
	.amdgcn_target "amdgcn-amd-amdhsa--gfx1030"
	.amdhsa_code_object_version 6
	.protected	bluestein_single_fwd_len425_dim1_sp_op_CI_CI ; -- Begin function bluestein_single_fwd_len425_dim1_sp_op_CI_CI
	.globl	bluestein_single_fwd_len425_dim1_sp_op_CI_CI
	.p2align	8
	.type	bluestein_single_fwd_len425_dim1_sp_op_CI_CI,@function
bluestein_single_fwd_len425_dim1_sp_op_CI_CI: ; @bluestein_single_fwd_len425_dim1_sp_op_CI_CI
; %bb.0:
	s_load_dwordx4 s[8:11], s[4:5], 0x28
	v_mul_u32_u24_e32 v1, 0xf10, v0
	s_mov_b64 s[22:23], s[2:3]
	s_mov_b64 s[20:21], s[0:1]
	s_mov_b32 s0, exec_lo
	s_add_u32 s20, s20, s7
	v_lshrrev_b32_e32 v1, 16, v1
	s_addc_u32 s21, s21, 0
	v_mad_u64_u32 v[160:161], null, s6, 3, v[1:2]
	v_mov_b32_e32 v161, 0
	s_waitcnt lgkmcnt(0)
	v_cmpx_gt_u64_e64 s[8:9], v[160:161]
	s_cbranch_execz .LBB0_15
; %bb.1:
	s_clause 0x1
	s_load_dwordx4 s[0:3], s[4:5], 0x18
	s_load_dwordx2 s[6:7], s[4:5], 0x0
	v_mul_lo_u16 v1, v1, 17
	v_sub_nc_u16 v12, v0, v1
	v_and_b32_e32 v167, 0xffff, v12
	v_lshlrev_b32_e32 v108, 3, v167
	v_or_b32_e32 v149, 0xc0, v167
	v_or_b32_e32 v140, 0x188, v167
	s_waitcnt lgkmcnt(0)
	s_load_dwordx4 s[12:15], s[0:1], 0x0
	s_clause 0x3
	global_load_dwordx2 v[45:46], v108, s[6:7]
	global_load_dwordx2 v[43:44], v108, s[6:7] offset:200
	global_load_dwordx2 v[168:169], v108, s[6:7] offset:400
	;; [unrolled: 1-line block ×3, first 2 shown]
	v_add_co_u32 v138, s0, s6, v108
	v_add_co_ci_u32_e64 v139, null, s7, 0, s0
	s_clause 0x6
	global_load_dwordx2 v[172:173], v108, s[6:7] offset:800
	global_load_dwordx2 v[163:164], v108, s[6:7] offset:1000
	;; [unrolled: 1-line block ×7, first 2 shown]
	s_waitcnt lgkmcnt(0)
	v_mad_u64_u32 v[0:1], null, s14, v160, 0
	v_mad_u64_u32 v[2:3], null, s12, v167, 0
	s_mul_i32 s1, s13, 25
	s_mul_hi_u32 s8, s12, 25
	s_mul_i32 s0, s12, 25
	s_add_i32 s1, s8, s1
	s_lshl_b64 s[16:17], s[0:1], 3
	v_mad_u64_u32 v[4:5], null, s15, v160, v[1:2]
	s_load_dwordx2 s[14:15], s[4:5], 0x38
	v_mad_u64_u32 v[5:6], null, s13, v167, v[3:4]
	v_mov_b32_e32 v1, v4
	v_lshlrev_b64 v[0:1], 3, v[0:1]
	v_mov_b32_e32 v3, v5
	v_lshlrev_b64 v[4:5], 3, v[2:3]
	v_add_co_u32 v2, vcc_lo, s10, v0
	v_add_co_ci_u32_e32 v3, vcc_lo, s11, v1, vcc_lo
	v_add_co_u32 v0, vcc_lo, v2, v4
	v_add_co_ci_u32_e32 v1, vcc_lo, v3, v5, vcc_lo
	;; [unrolled: 2-line block ×5, first 2 shown]
	s_clause 0x3
	global_load_dwordx2 v[147:148], v[136:137], off offset:152
	global_load_dwordx2 v[141:142], v[136:137], off offset:352
	global_load_dwordx2 v[145:146], v[136:137], off offset:552
	global_load_dwordx2 v[143:144], v[136:137], off offset:752
	v_add_co_u32 v8, vcc_lo, v6, s16
	v_add_co_ci_u32_e32 v9, vcc_lo, s17, v7, vcc_lo
	s_clause 0x3
	global_load_dwordx2 v[10:11], v[0:1], off
	global_load_dwordx2 v[4:5], v[4:5], off
	;; [unrolled: 1-line block ×4, first 2 shown]
	v_add_co_u32 v0, vcc_lo, v8, s16
	v_add_co_ci_u32_e32 v1, vcc_lo, s17, v9, vcc_lo
	v_add_co_u32 v8, vcc_lo, v0, s16
	v_add_co_ci_u32_e32 v9, vcc_lo, s17, v1, vcc_lo
	global_load_dwordx2 v[15:16], v[0:1], off
	v_add_co_u32 v0, vcc_lo, v8, s16
	v_add_co_ci_u32_e32 v1, vcc_lo, s17, v9, vcc_lo
	global_load_dwordx2 v[17:18], v[8:9], off
	;; [unrolled: 3-line block ×12, first 2 shown]
	s_clause 0x1
	global_load_dwordx2 v[150:151], v[136:137], off offset:952
	global_load_dwordx2 v[152:153], v[136:137], off offset:1152
	global_load_dwordx2 v[39:40], v[0:1], off
	v_cmp_gt_u16_e32 vcc_lo, 8, v12
	s_load_dwordx4 s[8:11], s[2:3], 0x0
	v_mul_hi_u32 v8, 0xaaaaaaab, v160
	v_lshrrev_b32_e32 v8, 1, v8
	v_lshl_add_u32 v8, v8, 1, v8
	v_sub_nc_u32_e32 v8, v160, v8
	v_mul_u32_u24_e32 v8, 0x1a9, v8
	v_lshlrev_b32_e32 v174, 3, v8
	v_add_nc_u32_e32 v180, v108, v174
	v_add_nc_u32_e32 v8, 0x400, v180
	s_waitcnt vmcnt(17)
	v_mul_f32_e32 v41, v5, v44
	v_mul_f32_e32 v9, v11, v46
	;; [unrolled: 1-line block ×4, first 2 shown]
	v_fmac_f32_e32 v41, v4, v43
	v_fmac_f32_e32 v9, v10, v45
	buffer_store_dword v45, off, s[20:23], 0 offset:8 ; 4-byte Folded Spill
	buffer_store_dword v46, off, s[20:23], 0 offset:12 ; 4-byte Folded Spill
	buffer_store_dword v43, off, s[20:23], 0 ; 4-byte Folded Spill
	buffer_store_dword v44, off, s[20:23], 0 offset:4 ; 4-byte Folded Spill
	s_waitcnt vmcnt(16)
	v_mul_f32_e32 v4, v7, v169
	v_fmac_f32_e32 v4, v6, v168
	v_fma_f32 v10, v11, v45, -v12
	v_fma_f32 v42, v5, v43, -v42
	v_mul_f32_e32 v5, v6, v169
	s_waitcnt vmcnt(14)
	v_mul_f32_e32 v6, v16, v173
	s_waitcnt vmcnt(13)
	v_mul_f32_e32 v11, v17, v164
	v_mul_f32_e32 v43, v14, v171
	ds_write2_b64 v180, v[9:10], v[41:42] offset1:25
	v_fma_f32 v5, v7, v168, -v5
	v_mul_f32_e32 v7, v13, v171
	v_mul_f32_e32 v10, v15, v173
	;; [unrolled: 1-line block ×3, first 2 shown]
	v_fmac_f32_e32 v6, v15, v172
	v_fmac_f32_e32 v43, v13, v170
	v_fma_f32 v44, v14, v170, -v7
	v_fma_f32 v7, v16, v172, -v10
	v_fmac_f32_e32 v9, v17, v163
	v_fma_f32 v10, v18, v163, -v11
	s_waitcnt vmcnt(12)
	v_mul_f32_e32 v13, v20, v166
	v_mul_f32_e32 v11, v19, v166
	ds_write2_b64 v180, v[4:5], v[43:44] offset0:50 offset1:75
	s_waitcnt vmcnt(11)
	v_mul_f32_e32 v4, v22, v159
	ds_write2_b64 v180, v[6:7], v[9:10] offset0:100 offset1:125
	s_waitcnt vmcnt(10)
	v_mul_f32_e32 v6, v24, v162
	v_mul_f32_e32 v7, v23, v162
	s_waitcnt vmcnt(9)
	v_mul_f32_e32 v9, v26, v155
	v_mul_f32_e32 v10, v25, v155
	;; [unrolled: 1-line block ×3, first 2 shown]
	v_fmac_f32_e32 v6, v23, v161
	v_fma_f32 v7, v24, v161, -v7
	v_fmac_f32_e32 v9, v25, v154
	v_fma_f32 v10, v26, v154, -v10
	;; [unrolled: 2-line block ×4, first 2 shown]
	ds_write2_b64 v180, v[6:7], v[9:10] offset0:200 offset1:225
	s_waitcnt vmcnt(7)
	v_mul_f32_e32 v7, v29, v148
	s_waitcnt vmcnt(6)
	v_mul_f32_e32 v6, v32, v142
	;; [unrolled: 2-line block ×3, first 2 shown]
	ds_write2_b64 v180, v[13:14], v[4:5] offset0:150 offset1:175
	v_mul_f32_e32 v4, v28, v157
	v_mul_f32_e32 v5, v27, v157
	;; [unrolled: 1-line block ×3, first 2 shown]
	v_fma_f32 v14, v30, v147, -v7
	v_mul_f32_e32 v7, v31, v142
	v_mul_f32_e32 v10, v33, v146
	s_waitcnt vmcnt(4)
	v_mul_f32_e32 v15, v36, v144
	v_mul_f32_e32 v11, v35, v144
	s_waitcnt vmcnt(2)
	;; [unrolled: 3-line block ×3, first 2 shown]
	v_mul_f32_e32 v19, v40, v153
	v_mul_f32_e32 v20, v39, v153
	v_add_nc_u32_e32 v12, 0x800, v180
	v_fmac_f32_e32 v4, v27, v156
	v_fma_f32 v5, v28, v156, -v5
	v_fmac_f32_e32 v13, v29, v147
	v_fmac_f32_e32 v6, v31, v141
	v_fma_f32 v7, v32, v141, -v7
	v_fmac_f32_e32 v9, v33, v145
	v_fma_f32 v10, v34, v145, -v10
	;; [unrolled: 2-line block ×5, first 2 shown]
	ds_write2_b64 v8, v[4:5], v[13:14] offset0:122 offset1:147
	ds_write2_b64 v12, v[6:7], v[9:10] offset0:44 offset1:69
	;; [unrolled: 1-line block ×3, first 2 shown]
	ds_write_b64 v180, v[19:20] offset:3200
	s_and_saveexec_b32 s1, vcc_lo
	s_cbranch_execz .LBB0_3
; %bb.2:
	v_mad_u64_u32 v[0:1], null, 0xfffff408, s12, v[0:1]
	s_mul_i32 s0, s13, 0xfffff408
	v_mad_u64_u32 v[4:5], null, s12, v149, 0
	s_sub_i32 s0, s0, s12
	v_mad_u64_u32 v[6:7], null, s12, v140, 0
	v_add_nc_u32_e32 v1, s0, v1
	v_add_co_u32 v9, s0, v0, s16
	s_mul_i32 s2, s13, 0x190
	v_lshlrev_b32_e32 v11, 3, v140
	v_add_co_ci_u32_e64 v10, s0, s17, v1, s0
	v_add_co_u32 v13, s0, v9, s16
	v_mad_u64_u32 v[17:18], null, s13, v149, v[5:6]
	v_add_co_ci_u32_e64 v14, s0, s17, v10, s0
	v_add_co_u32 v15, s0, v13, s16
	global_load_dwordx2 v[0:1], v[0:1], off
	v_add_co_ci_u32_e64 v16, s0, s17, v14, s0
	global_load_dwordx2 v[9:10], v[9:10], off
	global_load_dwordx2 v[13:14], v[13:14], off
	;; [unrolled: 1-line block ×3, first 2 shown]
	v_add_co_u32 v15, s0, v15, s16
	v_add_co_ci_u32_e64 v16, s0, s17, v16, s0
	s_clause 0x3
	global_load_dwordx2 v[20:21], v[138:139], off offset:136
	global_load_dwordx2 v[22:23], v[138:139], off offset:336
	;; [unrolled: 1-line block ×4, first 2 shown]
	global_load_dwordx2 v[28:29], v[15:16], off
	v_add_co_u32 v15, s0, v15, s16
	v_mad_u64_u32 v[30:31], null, s13, v140, v[7:8]
	v_add_co_ci_u32_e64 v16, s0, s17, v16, s0
	v_add_co_u32 v31, s0, v15, s16
	v_mov_b32_e32 v5, v17
	v_add_co_ci_u32_e64 v32, s0, s17, v16, s0
	v_mov_b32_e32 v7, v30
	global_load_dwordx2 v[15:16], v[15:16], off
	v_lshlrev_b64 v[4:5], 3, v[4:5]
	v_mad_u64_u32 v[33:34], null, 0x190, s12, v[31:32]
	v_lshlrev_b64 v[6:7], 3, v[6:7]
	v_add_co_u32 v4, s0, v2, v4
	v_add_co_ci_u32_e64 v5, s0, v3, v5, s0
	v_add_nc_u32_e32 v34, s2, v34
	v_add_co_u32 v2, s0, v2, v6
	v_add_co_ci_u32_e64 v3, s0, v3, v7, s0
	v_add_co_u32 v6, s0, v33, s16
	v_add_co_ci_u32_e64 v7, s0, s17, v34, s0
	global_load_dwordx2 v[4:5], v[4:5], off
	v_add_co_u32 v51, s0, v6, s16
	v_add_co_ci_u32_e64 v52, s0, s17, v7, s0
	s_clause 0x3
	global_load_dwordx2 v[35:36], v[138:139], off offset:936
	global_load_dwordx2 v[37:38], v[138:139], off offset:1136
	;; [unrolled: 1-line block ×4, first 2 shown]
	v_add_co_u32 v53, s0, v51, s16
	v_add_co_ci_u32_e64 v54, s0, s17, v52, s0
	s_clause 0x1
	global_load_dwordx2 v[43:44], v[136:137], off offset:288
	global_load_dwordx2 v[45:46], v[136:137], off offset:488
	global_load_dwordx2 v[2:3], v[2:3], off
	s_clause 0x1
	global_load_dwordx2 v[47:48], v[136:137], off offset:88
	global_load_dwordx2 v[49:50], v11, s[6:7]
	global_load_dwordx2 v[30:31], v[31:32], off
	v_add_co_u32 v55, s0, v53, s16
	v_add_co_ci_u32_e64 v56, s0, s17, v54, s0
	global_load_dwordx2 v[32:33], v[33:34], off
	v_add_co_u32 v61, s0, v55, s16
	v_add_co_ci_u32_e64 v62, s0, s17, v56, s0
	global_load_dwordx2 v[6:7], v[6:7], off
	v_add_co_u32 v63, s0, v61, s16
	v_add_co_ci_u32_e64 v64, s0, s17, v62, s0
	s_clause 0x1
	global_load_dwordx2 v[57:58], v[138:139], off offset:1736
	global_load_dwordx2 v[59:60], v[138:139], off offset:1936
	global_load_dwordx2 v[51:52], v[51:52], off
	global_load_dwordx2 v[53:54], v[53:54], off
	v_mad_u64_u32 v[65:66], null, 0x190, s12, v[63:64]
	global_load_dwordx2 v[55:56], v[55:56], off
	global_load_dwordx2 v[61:62], v[61:62], off
	global_load_dwordx2 v[67:68], v[136:137], off offset:688
	v_add_nc_u32_e32 v66, s2, v66
	global_load_dwordx2 v[63:64], v[63:64], off
	s_clause 0x1
	global_load_dwordx2 v[69:70], v[136:137], off offset:888
	global_load_dwordx2 v[71:72], v[136:137], off offset:1288
	global_load_dwordx2 v[65:66], v[65:66], off
	s_waitcnt vmcnt(29)
	v_mul_f32_e32 v73, v1, v21
	v_mul_f32_e32 v11, v0, v21
	s_waitcnt vmcnt(28)
	v_mul_f32_e32 v21, v10, v23
	v_mul_f32_e32 v17, v9, v23
	v_fmac_f32_e32 v73, v0, v20
	v_fma_f32 v74, v1, v20, -v11
	v_fmac_f32_e32 v21, v9, v22
	v_fma_f32 v22, v10, v22, -v17
	s_waitcnt vmcnt(27)
	v_mul_f32_e32 v0, v14, v25
	v_mul_f32_e32 v1, v13, v25
	s_waitcnt vmcnt(26)
	v_mul_f32_e32 v9, v19, v27
	v_mul_f32_e32 v10, v18, v27
	ds_write2_b64 v180, v[73:74], v[21:22] offset0:17 offset1:42
	v_fmac_f32_e32 v0, v13, v24
	v_fma_f32 v1, v14, v24, -v1
	v_fmac_f32_e32 v9, v18, v26
	v_fma_f32 v10, v19, v26, -v10
	ds_write2_b64 v180, v[0:1], v[9:10] offset0:67 offset1:92
	s_waitcnt vmcnt(22)
	v_mul_f32_e32 v13, v29, v36
	v_mul_f32_e32 v11, v28, v36
	s_waitcnt vmcnt(21)
	v_mul_f32_e32 v0, v16, v38
	s_waitcnt vmcnt(19)
	v_mul_f32_e32 v17, v5, v42
	v_mul_f32_e32 v1, v15, v38
	v_mul_f32_e32 v18, v4, v42
	v_fmac_f32_e32 v13, v28, v35
	v_fma_f32 v14, v29, v35, -v11
	v_fmac_f32_e32 v17, v4, v41
	s_waitcnt vmcnt(13)
	v_mul_f32_e32 v4, v31, v40
	v_mul_f32_e32 v9, v30, v40
	v_fmac_f32_e32 v0, v15, v37
	v_fma_f32 v1, v16, v37, -v1
	v_fma_f32 v18, v5, v41, -v18
	v_fmac_f32_e32 v4, v30, v39
	v_fma_f32 v5, v31, v39, -v9
	v_mul_f32_e32 v19, v3, v50
	v_mul_f32_e32 v20, v2, v50
	ds_write2_b64 v180, v[13:14], v[0:1] offset0:117 offset1:142
	ds_write2_b64 v180, v[4:5], v[17:18] offset0:167 offset1:192
	v_fmac_f32_e32 v19, v2, v49
	s_waitcnt vmcnt(10)
	v_mul_f32_e32 v1, v32, v58
	s_waitcnt vmcnt(9)
	v_mul_f32_e32 v0, v7, v60
	v_mul_f32_e32 v5, v6, v60
	s_waitcnt vmcnt(8)
	v_mul_f32_e32 v9, v51, v48
	v_mul_f32_e32 v2, v33, v58
	v_fma_f32 v20, v3, v49, -v20
	v_mul_f32_e32 v4, v52, v48
	v_fma_f32 v3, v33, v57, -v1
	v_fmac_f32_e32 v0, v6, v59
	v_fma_f32 v1, v7, v59, -v5
	s_waitcnt vmcnt(7)
	v_mul_f32_e32 v6, v54, v44
	v_mul_f32_e32 v7, v53, v44
	v_fma_f32 v5, v52, v47, -v9
	s_waitcnt vmcnt(6)
	v_mul_f32_e32 v9, v56, v46
	v_mul_f32_e32 v10, v55, v46
	s_waitcnt vmcnt(4)
	v_mul_f32_e32 v13, v62, v68
	v_mul_f32_e32 v11, v61, v68
	;; [unrolled: 3-line block ×4, first 2 shown]
	v_fmac_f32_e32 v2, v32, v57
	v_fmac_f32_e32 v4, v51, v47
	;; [unrolled: 1-line block ×3, first 2 shown]
	v_fma_f32 v7, v54, v43, -v7
	v_fmac_f32_e32 v9, v55, v45
	v_fma_f32 v10, v56, v45, -v10
	v_fmac_f32_e32 v13, v61, v67
	;; [unrolled: 2-line block ×4, first 2 shown]
	v_fma_f32 v18, v66, v71, -v18
	ds_write2_b64 v180, v[2:3], v[0:1] offset0:217 offset1:242
	ds_write2_b64 v12, v[4:5], v[6:7] offset0:11 offset1:36
	;; [unrolled: 1-line block ×4, first 2 shown]
	ds_write_b64 v180, v[17:18] offset:3336
.LBB0_3:
	s_or_b32 exec_lo, exec_lo, s1
	s_waitcnt lgkmcnt(0)
	s_waitcnt_vscnt null, 0x0
	s_barrier
	buffer_gl0_inv
	ds_read2_b64 v[60:63], v180 offset1:25
	ds_read2_b64 v[52:55], v180 offset0:50 offset1:75
	ds_read2_b64 v[36:39], v180 offset0:100 offset1:125
	;; [unrolled: 1-line block ×7, first 2 shown]
	ds_read_b64 v[66:67], v180 offset:3200
	s_load_dwordx2 s[0:1], s[4:5], 0x8
	v_mov_b32_e32 v16, 0
	v_mov_b32_e32 v17, 0
                                        ; implicit-def: $vgpr30
                                        ; implicit-def: $vgpr24
                                        ; implicit-def: $vgpr20
                                        ; implicit-def: $vgpr12
                                        ; implicit-def: $vgpr64
                                        ; implicit-def: $vgpr34
                                        ; implicit-def: $vgpr42
                                        ; implicit-def: $vgpr46
	s_and_saveexec_b32 s2, vcc_lo
	s_cbranch_execz .LBB0_5
; %bb.4:
	v_add_nc_u32_e32 v12, 0x800, v180
	ds_read2_b64 v[16:19], v180 offset0:17 offset1:42
	ds_read2_b64 v[44:47], v180 offset0:67 offset1:92
	;; [unrolled: 1-line block ×8, first 2 shown]
	ds_read_b64 v[64:65], v180 offset:3336
.LBB0_5:
	s_or_b32 exec_lo, exec_lo, s2
	s_waitcnt lgkmcnt(0)
	v_add_f32_e32 v68, v60, v62
	v_add_f32_e32 v69, v61, v63
	v_sub_f32_e32 v71, v63, v67
	v_add_f32_e32 v73, v67, v63
	v_add_f32_e32 v70, v66, v62
	;; [unrolled: 1-line block ×4, first 2 shown]
	v_sub_f32_e32 v72, v62, v66
	v_mul_f32_e32 v62, 0xbeb8f4ab, v71
	v_mul_f32_e32 v78, 0xbf7ee86f, v71
	v_add_f32_e32 v63, v68, v54
	v_add_f32_e32 v68, v69, v55
	v_mul_f32_e32 v79, 0xbf7ee86f, v72
	v_fma_f32 v81, 0x3f6eb680, v70, -v62
	v_fmac_f32_e32 v62, 0x3f6eb680, v70
	v_add_f32_e32 v63, v63, v36
	v_add_f32_e32 v68, v68, v37
	v_mul_f32_e32 v75, 0xbf2c7751, v72
	v_mul_f32_e32 v76, 0xbf65296c, v71
	v_add_f32_e32 v90, v60, v62
	v_add_f32_e32 v63, v63, v38
	;; [unrolled: 1-line block ×3, first 2 shown]
	v_mul_f32_e32 v77, 0xbf65296c, v72
	v_mul_f32_e32 v80, 0xbf763a35, v71
	v_fma_f32 v87, 0x3dbcf732, v70, -v78
	v_add_f32_e32 v63, v63, v4
	v_add_f32_e32 v68, v68, v5
	v_fmamk_f32 v88, v73, 0x3dbcf732, v79
	v_fmac_f32_e32 v78, 0x3dbcf732, v70
	v_fma_f32 v79, 0x3dbcf732, v73, -v79
	v_add_f32_e32 v63, v63, v6
	v_add_f32_e32 v68, v68, v7
	v_mul_f32_e32 v69, 0xbeb8f4ab, v72
	v_mul_f32_e32 v74, 0xbf2c7751, v71
	v_fmamk_f32 v84, v73, 0x3f3d2fb0, v75
	v_add_f32_e32 v63, v63, v0
	v_add_f32_e32 v68, v68, v1
	v_fma_f32 v85, 0x3ee437d1, v70, -v76
	v_fmamk_f32 v86, v73, 0x3ee437d1, v77
	v_fma_f32 v89, 0xbe8c1d8e, v70, -v80
	v_add_f32_e32 v63, v63, v2
	v_add_f32_e32 v68, v68, v3
	v_mul_f32_e32 v92, 0xbf4c4adb, v72
	v_mul_f32_e32 v94, 0xbf06c442, v71
	v_mul_f32_e32 v95, 0xbf06c442, v72
	v_add_f32_e32 v63, v63, v8
	v_add_f32_e32 v68, v68, v9
	v_sub_f32_e32 v99, v53, v59
	v_add_f32_e32 v101, v58, v52
	v_sub_f32_e32 v52, v52, v58
	v_add_f32_e32 v63, v63, v10
	v_add_f32_e32 v68, v68, v11
	v_fmamk_f32 v82, v73, 0x3f6eb680, v69
	v_fma_f32 v69, 0x3f6eb680, v73, -v69
	v_fma_f32 v83, 0x3f3d2fb0, v70, -v74
	v_add_f32_e32 v63, v63, v48
	v_add_f32_e32 v68, v68, v49
	v_fmac_f32_e32 v74, 0x3f3d2fb0, v70
	v_fma_f32 v75, 0x3f3d2fb0, v73, -v75
	v_fmac_f32_e32 v76, 0x3ee437d1, v70
	v_add_f32_e32 v62, v63, v50
	v_add_f32_e32 v63, v68, v51
	v_fma_f32 v77, 0x3ee437d1, v73, -v77
	v_add_f32_e32 v68, v61, v84
	v_add_f32_e32 v84, v60, v85
	;; [unrolled: 1-line block ×10, first 2 shown]
	v_fmac_f32_e32 v80, 0xbe8c1d8e, v70
	v_fmamk_f32 v93, v73, 0xbf1a4643, v92
	v_add_f32_e32 v62, v62, v66
	v_add_f32_e32 v63, v63, v67
	v_mul_f32_e32 v66, 0xbf763a35, v72
	v_add_f32_e32 v67, v60, v78
	v_add_f32_e32 v78, v61, v79
	v_mul_f32_e32 v79, 0xbf4c4adb, v71
	v_mul_f32_e32 v71, 0xbe3c28d5, v71
	;; [unrolled: 1-line block ×3, first 2 shown]
	v_fmamk_f32 v89, v73, 0xbe8c1d8e, v66
	v_fma_f32 v66, 0xbe8c1d8e, v73, -v66
	v_fma_f32 v91, 0xbf1a4643, v70, -v79
	v_fmac_f32_e32 v79, 0xbf1a4643, v70
	v_fma_f32 v92, 0xbf1a4643, v73, -v92
	v_fma_f32 v96, 0xbf59a7d5, v70, -v94
	v_fmamk_f32 v97, v73, 0xbf59a7d5, v95
	v_fmac_f32_e32 v94, 0xbf59a7d5, v70
	v_fma_f32 v95, 0xbf59a7d5, v73, -v95
	v_fma_f32 v98, 0xbf7ba420, v70, -v71
	v_fmamk_f32 v100, v73, 0xbf7ba420, v72
	v_mul_f32_e32 v102, 0xbf2c7751, v99
	v_fmac_f32_e32 v71, 0xbf7ba420, v70
	v_fma_f32 v58, 0xbf7ba420, v73, -v72
	v_add_f32_e32 v53, v59, v53
	v_mul_f32_e32 v70, 0xbf2c7751, v52
	v_add_f32_e32 v81, v60, v81
	v_add_f32_e32 v82, v61, v82
	;; [unrolled: 1-line block ×20, first 2 shown]
	v_fma_f32 v59, 0x3f3d2fb0, v101, -v102
	v_add_f32_e32 v72, v61, v100
	v_add_f32_e32 v60, v60, v71
	;; [unrolled: 1-line block ×3, first 2 shown]
	v_fmamk_f32 v61, v53, 0x3f3d2fb0, v70
	v_mul_f32_e32 v71, 0xbf7ee86f, v99
	v_fmac_f32_e32 v102, 0x3f3d2fb0, v101
	v_fma_f32 v70, 0x3f3d2fb0, v53, -v70
	v_mul_f32_e32 v73, 0xbf7ee86f, v52
	v_add_f32_e32 v59, v59, v81
	v_add_f32_e32 v61, v61, v82
	v_fma_f32 v81, 0x3dbcf732, v101, -v71
	v_add_f32_e32 v82, v102, v90
	v_add_f32_e32 v69, v70, v69
	v_fmamk_f32 v70, v53, 0x3dbcf732, v73
	v_mul_f32_e32 v90, 0xbf4c4adb, v99
	v_fmac_f32_e32 v71, 0x3dbcf732, v101
	v_add_f32_e32 v81, v81, v83
	v_fma_f32 v73, 0x3dbcf732, v53, -v73
	v_add_f32_e32 v68, v70, v68
	v_fma_f32 v70, 0xbf1a4643, v101, -v90
	v_mul_f32_e32 v83, 0xbf4c4adb, v52
	v_add_f32_e32 v71, v71, v74
	v_mul_f32_e32 v74, 0xbe3c28d5, v99
	v_add_f32_e32 v73, v73, v75
	v_add_f32_e32 v70, v70, v84
	v_fmamk_f32 v75, v53, 0xbf1a4643, v83
	v_fmac_f32_e32 v90, 0xbf1a4643, v101
	v_fma_f32 v83, 0xbf1a4643, v53, -v83
	v_fma_f32 v84, 0xbf7ba420, v101, -v74
	v_mul_f32_e32 v100, 0xbe3c28d5, v52
	v_add_f32_e32 v75, v75, v85
	v_add_f32_e32 v76, v90, v76
	;; [unrolled: 1-line block ×4, first 2 shown]
	v_fmamk_f32 v84, v53, 0xbf7ba420, v100
	v_mul_f32_e32 v85, 0x3f06c442, v99
	v_fmac_f32_e32 v74, 0xbf7ba420, v101
	v_fma_f32 v86, 0xbf7ba420, v53, -v100
	v_mul_f32_e32 v90, 0x3f06c442, v52
	v_add_f32_e32 v84, v84, v87
	v_fma_f32 v87, 0xbf59a7d5, v101, -v85
	v_add_f32_e32 v67, v74, v67
	v_add_f32_e32 v74, v86, v78
	v_fmamk_f32 v78, v53, 0xbf59a7d5, v90
	v_mul_f32_e32 v86, 0x3f763a35, v99
	v_add_f32_e32 v87, v87, v88
	v_fmac_f32_e32 v85, 0xbf59a7d5, v101
	v_fma_f32 v88, 0xbf59a7d5, v53, -v90
	v_add_f32_e32 v78, v78, v89
	v_fma_f32 v89, 0xbe8c1d8e, v101, -v86
	v_mul_f32_e32 v90, 0x3f763a35, v52
	v_add_f32_e32 v80, v85, v80
	v_add_f32_e32 v66, v88, v66
	v_mul_f32_e32 v85, 0x3f65296c, v99
	v_add_f32_e32 v88, v89, v91
	v_fmamk_f32 v89, v53, 0xbe8c1d8e, v90
	v_fmac_f32_e32 v86, 0xbe8c1d8e, v101
	v_fma_f32 v90, 0xbe8c1d8e, v53, -v90
	v_fma_f32 v91, 0x3ee437d1, v101, -v85
	v_mul_f32_e32 v100, 0x3f65296c, v52
	v_add_f32_e32 v89, v89, v93
	v_add_f32_e32 v79, v86, v79
	;; [unrolled: 1-line block ×3, first 2 shown]
	v_mul_f32_e32 v92, 0x3eb8f4ab, v99
	v_add_f32_e32 v90, v91, v96
	v_fmac_f32_e32 v85, 0x3ee437d1, v101
	v_fma_f32 v93, 0x3ee437d1, v53, -v100
	v_fmamk_f32 v91, v53, 0x3ee437d1, v100
	v_fma_f32 v96, 0x3f6eb680, v101, -v92
	v_mul_f32_e32 v52, 0x3eb8f4ab, v52
	v_add_f32_e32 v85, v85, v94
	v_add_f32_e32 v93, v93, v95
	v_sub_f32_e32 v94, v55, v57
	v_add_f32_e32 v95, v96, v98
	v_add_f32_e32 v96, v56, v54
	v_sub_f32_e32 v54, v54, v56
	v_add_f32_e32 v91, v91, v97
	v_fmamk_f32 v97, v53, 0x3f6eb680, v52
	v_mul_f32_e32 v56, 0xbf65296c, v94
	v_fmac_f32_e32 v92, 0x3f6eb680, v101
	v_fma_f32 v52, 0x3f6eb680, v53, -v52
	v_add_f32_e32 v53, v57, v55
	v_mul_f32_e32 v55, 0xbf65296c, v54
	v_fma_f32 v57, 0x3ee437d1, v96, -v56
	v_add_f32_e32 v60, v92, v60
	v_add_f32_e32 v52, v52, v58
	v_mul_f32_e32 v58, 0xbf4c4adb, v94
	v_fmamk_f32 v92, v53, 0x3ee437d1, v55
	v_add_f32_e32 v57, v57, v59
	v_fmac_f32_e32 v56, 0x3ee437d1, v96
	v_fma_f32 v55, 0x3ee437d1, v53, -v55
	v_fma_f32 v59, 0xbf1a4643, v96, -v58
	v_add_f32_e32 v61, v92, v61
	v_mul_f32_e32 v92, 0xbf4c4adb, v54
	v_add_f32_e32 v56, v56, v82
	v_add_f32_e32 v55, v55, v69
	v_add_f32_e32 v59, v59, v81
	v_mul_f32_e32 v69, 0x3e3c28d5, v94
	v_fmamk_f32 v81, v53, 0xbf1a4643, v92
	v_fmac_f32_e32 v58, 0xbf1a4643, v96
	v_fma_f32 v82, 0xbf1a4643, v53, -v92
	v_mul_f32_e32 v92, 0x3e3c28d5, v54
	v_add_f32_e32 v72, v97, v72
	v_fma_f32 v97, 0xbf7ba420, v96, -v69
	v_add_f32_e32 v68, v81, v68
	v_add_f32_e32 v58, v58, v71
	;; [unrolled: 1-line block ×3, first 2 shown]
	v_fmamk_f32 v73, v53, 0xbf7ba420, v92
	v_mul_f32_e32 v81, 0x3f763a35, v94
	v_fmac_f32_e32 v69, 0xbf7ba420, v96
	v_fma_f32 v82, 0xbf7ba420, v53, -v92
	v_add_f32_e32 v70, v97, v70
	v_add_f32_e32 v73, v73, v75
	v_mul_f32_e32 v75, 0x3f763a35, v54
	v_fma_f32 v92, 0xbe8c1d8e, v96, -v81
	v_add_f32_e32 v69, v69, v76
	v_add_f32_e32 v76, v82, v77
	v_mul_f32_e32 v77, 0x3f2c7751, v94
	v_fmamk_f32 v82, v53, 0xbe8c1d8e, v75
	v_add_f32_e32 v83, v92, v83
	v_fmac_f32_e32 v81, 0xbe8c1d8e, v96
	v_fma_f32 v75, 0xbe8c1d8e, v53, -v75
	v_fma_f32 v92, 0x3f3d2fb0, v96, -v77
	v_add_f32_e32 v82, v82, v84
	v_mul_f32_e32 v84, 0x3f2c7751, v54
	v_add_f32_e32 v67, v81, v67
	v_add_f32_e32 v74, v75, v74
	;; [unrolled: 1-line block ×3, first 2 shown]
	v_mul_f32_e32 v81, 0xbeb8f4ab, v94
	v_fmac_f32_e32 v77, 0x3f3d2fb0, v96
	v_mul_f32_e32 v92, 0xbeb8f4ab, v54
	v_fmamk_f32 v87, v53, 0x3f3d2fb0, v84
	v_fma_f32 v84, 0x3f3d2fb0, v53, -v84
	v_fma_f32 v97, 0x3f6eb680, v96, -v81
	v_add_f32_e32 v77, v77, v80
	v_fmamk_f32 v80, v53, 0x3f6eb680, v92
	v_add_f32_e32 v78, v87, v78
	v_add_f32_e32 v66, v84, v66
	;; [unrolled: 1-line block ×3, first 2 shown]
	v_mul_f32_e32 v87, 0xbf7ee86f, v94
	v_fmac_f32_e32 v81, 0x3f6eb680, v96
	v_fma_f32 v88, 0x3f6eb680, v53, -v92
	v_add_f32_e32 v80, v80, v89
	v_mul_f32_e32 v89, 0xbf7ee86f, v54
	v_fma_f32 v92, 0x3dbcf732, v96, -v87
	v_add_f32_e32 v79, v81, v79
	v_add_f32_e32 v81, v88, v86
	v_mul_f32_e32 v86, 0xbf06c442, v94
	v_fmamk_f32 v88, v53, 0x3dbcf732, v89
	v_fmac_f32_e32 v87, 0x3dbcf732, v96
	v_fma_f32 v89, 0x3dbcf732, v53, -v89
	v_add_f32_e32 v90, v92, v90
	v_fma_f32 v92, 0xbf59a7d5, v96, -v86
	v_add_f32_e32 v88, v88, v91
	v_mul_f32_e32 v54, 0xbf06c442, v54
	v_add_f32_e32 v85, v87, v85
	v_add_f32_e32 v87, v89, v93
	v_sub_f32_e32 v91, v37, v51
	v_sub_f32_e32 v93, v36, v50
	v_add_f32_e32 v89, v92, v95
	v_fmamk_f32 v92, v53, 0xbf59a7d5, v54
	v_fmac_f32_e32 v86, 0xbf59a7d5, v96
	v_add_f32_e32 v36, v50, v36
	v_mul_f32_e32 v50, 0xbf7ee86f, v91
	v_fma_f32 v53, 0xbf59a7d5, v53, -v54
	v_add_f32_e32 v37, v51, v37
	v_mul_f32_e32 v51, 0xbf7ee86f, v93
	v_add_f32_e32 v54, v92, v72
	v_fma_f32 v72, 0x3dbcf732, v36, -v50
	v_add_f32_e32 v60, v86, v60
	v_add_f32_e32 v52, v53, v52
	v_fmamk_f32 v53, v37, 0x3dbcf732, v51
	v_mul_f32_e32 v86, 0xbe3c28d5, v91
	v_fma_f32 v51, 0x3dbcf732, v37, -v51
	v_add_f32_e32 v57, v72, v57
	v_fmac_f32_e32 v50, 0x3dbcf732, v36
	v_add_f32_e32 v53, v53, v61
	v_fma_f32 v61, 0xbf7ba420, v36, -v86
	v_mul_f32_e32 v72, 0xbe3c28d5, v93
	v_add_f32_e32 v51, v51, v55
	v_mul_f32_e32 v55, 0x3f763a35, v91
	v_add_f32_e32 v50, v50, v56
	v_add_f32_e32 v56, v61, v59
	v_fmamk_f32 v59, v37, 0xbf7ba420, v72
	v_fma_f32 v61, 0xbf7ba420, v37, -v72
	v_fma_f32 v72, 0xbe8c1d8e, v36, -v55
	v_mul_f32_e32 v92, 0x3f763a35, v93
	v_fmac_f32_e32 v86, 0xbf7ba420, v36
	v_add_f32_e32 v59, v59, v68
	v_add_f32_e32 v61, v61, v71
	;; [unrolled: 1-line block ×3, first 2 shown]
	v_fmamk_f32 v70, v37, 0xbe8c1d8e, v92
	v_mul_f32_e32 v71, 0x3eb8f4ab, v91
	v_add_f32_e32 v58, v86, v58
	v_fmac_f32_e32 v55, 0xbe8c1d8e, v36
	v_fma_f32 v72, 0xbe8c1d8e, v37, -v92
	v_mul_f32_e32 v86, 0x3eb8f4ab, v93
	v_add_f32_e32 v70, v70, v73
	v_fma_f32 v73, 0x3f6eb680, v36, -v71
	v_add_f32_e32 v55, v55, v69
	v_add_f32_e32 v69, v72, v76
	v_fmamk_f32 v72, v37, 0x3f6eb680, v86
	v_mul_f32_e32 v76, 0xbf65296c, v91
	v_add_f32_e32 v73, v73, v83
	v_fmac_f32_e32 v71, 0x3f6eb680, v36
	v_fma_f32 v83, 0x3f6eb680, v37, -v86
	v_add_f32_e32 v72, v72, v82
	v_fma_f32 v82, 0x3ee437d1, v36, -v76
	v_mul_f32_e32 v86, 0xbf65296c, v93
	v_add_f32_e32 v67, v71, v67
	v_add_f32_e32 v71, v83, v74
	v_mul_f32_e32 v74, 0xbf06c442, v91
	v_add_f32_e32 v75, v82, v75
	v_fmamk_f32 v82, v37, 0x3ee437d1, v86
	v_fmac_f32_e32 v76, 0x3ee437d1, v36
	v_fma_f32 v83, 0x3ee437d1, v37, -v86
	v_fma_f32 v86, 0xbf59a7d5, v36, -v74
	v_mul_f32_e32 v92, 0xbf06c442, v93
	v_add_f32_e32 v78, v82, v78
	v_add_f32_e32 v76, v76, v77
	;; [unrolled: 1-line block ×4, first 2 shown]
	v_fmamk_f32 v82, v37, 0xbf59a7d5, v92
	v_mul_f32_e32 v83, 0x3f4c4adb, v91
	v_fmac_f32_e32 v74, 0xbf59a7d5, v36
	v_mul_f32_e32 v84, 0x3f4c4adb, v93
	v_fma_f32 v86, 0xbf59a7d5, v37, -v92
	v_add_f32_e32 v80, v82, v80
	v_fma_f32 v82, 0xbf1a4643, v36, -v83
	v_add_f32_e32 v74, v74, v79
	v_fmamk_f32 v79, v37, 0xbf1a4643, v84
	v_add_f32_e32 v81, v86, v81
	v_mul_f32_e32 v86, 0x3f2c7751, v91
	v_fmac_f32_e32 v83, 0xbf1a4643, v36
	v_fma_f32 v84, 0xbf1a4643, v37, -v84
	v_add_f32_e32 v79, v79, v88
	v_add_f32_e32 v82, v82, v90
	v_fma_f32 v88, 0x3f3d2fb0, v36, -v86
	v_add_f32_e32 v83, v83, v85
	v_sub_f32_e32 v85, v39, v49
	v_mul_f32_e32 v90, 0x3f2c7751, v93
	v_add_f32_e32 v84, v84, v87
	v_add_f32_e32 v87, v88, v89
	;; [unrolled: 1-line block ×3, first 2 shown]
	v_mul_f32_e32 v91, 0xbf763a35, v85
	v_sub_f32_e32 v38, v38, v48
	v_fmamk_f32 v88, v37, 0x3f3d2fb0, v90
	v_fmac_f32_e32 v86, 0x3f3d2fb0, v36
	v_fma_f32 v36, 0x3f3d2fb0, v37, -v90
	v_add_f32_e32 v37, v49, v39
	v_fma_f32 v39, 0xbe8c1d8e, v89, -v91
	v_mul_f32_e32 v48, 0xbf763a35, v38
	v_add_f32_e32 v49, v88, v54
	v_add_f32_e32 v36, v36, v52
	;; [unrolled: 1-line block ×4, first 2 shown]
	v_fmamk_f32 v52, v37, 0xbe8c1d8e, v48
	v_mul_f32_e32 v57, 0x3f06c442, v85
	v_fma_f32 v48, 0xbe8c1d8e, v37, -v48
	v_mul_f32_e32 v60, 0x3f06c442, v38
	v_mul_f32_e32 v86, 0x3f2c7751, v85
	v_add_f32_e32 v52, v52, v53
	v_fma_f32 v53, 0xbf59a7d5, v89, -v57
	v_add_f32_e32 v48, v48, v51
	v_fmamk_f32 v51, v37, 0xbf59a7d5, v60
	v_fmac_f32_e32 v57, 0xbf59a7d5, v89
	v_mul_f32_e32 v88, 0xbf65296c, v38
	v_add_f32_e32 v53, v53, v56
	v_fma_f32 v56, 0xbf59a7d5, v37, -v60
	v_mul_f32_e32 v60, 0x3f2c7751, v38
	v_add_f32_e32 v51, v51, v59
	v_fma_f32 v59, 0x3f3d2fb0, v89, -v86
	v_add_f32_e32 v57, v57, v58
	v_add_f32_e32 v56, v56, v61
	v_mul_f32_e32 v58, 0xbf65296c, v85
	v_fmamk_f32 v61, v37, 0x3f3d2fb0, v60
	v_fma_f32 v60, 0x3f3d2fb0, v37, -v60
	v_add_f32_e32 v59, v59, v68
	v_fmac_f32_e32 v86, 0x3f3d2fb0, v89
	v_fma_f32 v68, 0x3ee437d1, v89, -v58
	v_add_f32_e32 v61, v61, v70
	v_add_f32_e32 v60, v60, v69
	v_fmamk_f32 v69, v37, 0x3ee437d1, v88
	v_mul_f32_e32 v70, 0xbe3c28d5, v85
	v_add_f32_e32 v55, v86, v55
	v_add_f32_e32 v68, v68, v73
	v_fmac_f32_e32 v58, 0x3ee437d1, v89
	v_fma_f32 v73, 0x3ee437d1, v37, -v88
	v_mul_f32_e32 v86, 0xbe3c28d5, v38
	v_add_f32_e32 v69, v69, v72
	v_fma_f32 v72, 0xbf7ba420, v89, -v70
	v_add_f32_e32 v58, v58, v67
	v_add_f32_e32 v67, v73, v71
	v_fmamk_f32 v71, v37, 0xbf7ba420, v86
	v_mul_f32_e32 v73, 0x3f7ee86f, v85
	v_add_f32_e32 v72, v72, v75
	v_fma_f32 v75, 0xbf7ba420, v37, -v86
	v_fmac_f32_e32 v70, 0xbf7ba420, v89
	v_add_f32_e32 v71, v71, v78
	v_fma_f32 v78, 0x3dbcf732, v89, -v73
	v_mul_f32_e32 v86, 0x3f7ee86f, v38
	v_add_f32_e32 v66, v75, v66
	v_mul_f32_e32 v75, 0xbeb8f4ab, v85
	v_add_f32_e32 v70, v70, v76
	v_add_f32_e32 v76, v78, v77
	v_fmamk_f32 v77, v37, 0x3dbcf732, v86
	v_fmac_f32_e32 v73, 0x3dbcf732, v89
	v_fma_f32 v78, 0x3dbcf732, v37, -v86
	v_fma_f32 v86, 0x3f6eb680, v89, -v75
	v_mul_f32_e32 v88, 0xbeb8f4ab, v38
	v_fmac_f32_e32 v75, 0x3f6eb680, v89
	v_add_f32_e32 v73, v73, v74
	v_add_f32_e32 v74, v78, v81
	;; [unrolled: 1-line block ×3, first 2 shown]
	v_fma_f32 v82, 0x3f6eb680, v37, -v88
	v_add_f32_e32 v77, v77, v80
	v_fmamk_f32 v80, v37, 0x3f6eb680, v88
	v_mul_f32_e32 v81, 0xbf4c4adb, v85
	v_mul_f32_e32 v38, 0xbf4c4adb, v38
	v_add_f32_e32 v75, v75, v83
	v_add_f32_e32 v82, v82, v84
	v_sub_f32_e32 v83, v5, v11
	v_add_f32_e32 v84, v10, v4
	v_sub_f32_e32 v4, v4, v10
	v_add_f32_e32 v79, v80, v79
	v_fma_f32 v80, 0xbf1a4643, v89, -v81
	v_fmamk_f32 v85, v37, 0xbf1a4643, v38
	v_mul_f32_e32 v10, 0xbf4c4adb, v83
	v_fmac_f32_e32 v81, 0xbf1a4643, v89
	v_fma_f32 v37, 0xbf1a4643, v37, -v38
	v_add_f32_e32 v5, v11, v5
	v_mul_f32_e32 v11, 0xbf4c4adb, v4
	v_fmac_f32_e32 v91, 0xbe8c1d8e, v89
	v_fma_f32 v38, 0xbf1a4643, v84, -v10
	v_add_f32_e32 v54, v81, v54
	v_add_f32_e32 v36, v37, v36
	v_mul_f32_e32 v37, 0x3f763a35, v83
	v_fmamk_f32 v81, v5, 0xbf1a4643, v11
	v_add_f32_e32 v50, v91, v50
	v_add_f32_e32 v38, v38, v39
	v_fmac_f32_e32 v10, 0xbf1a4643, v84
	v_fma_f32 v11, 0xbf1a4643, v5, -v11
	v_fma_f32 v39, 0xbe8c1d8e, v84, -v37
	v_add_f32_e32 v52, v81, v52
	v_mul_f32_e32 v81, 0x3f763a35, v4
	v_add_f32_e32 v10, v10, v50
	v_add_f32_e32 v11, v11, v48
	;; [unrolled: 1-line block ×3, first 2 shown]
	v_mul_f32_e32 v48, 0xbeb8f4ab, v83
	v_fmamk_f32 v50, v5, 0xbe8c1d8e, v81
	v_fma_f32 v53, 0xbe8c1d8e, v5, -v81
	v_mul_f32_e32 v81, 0xbeb8f4ab, v4
	v_add_f32_e32 v49, v85, v49
	v_fmac_f32_e32 v37, 0xbe8c1d8e, v84
	v_fma_f32 v85, 0x3f6eb680, v84, -v48
	v_add_f32_e32 v50, v50, v51
	v_add_f32_e32 v51, v53, v56
	v_fmamk_f32 v53, v5, 0x3f6eb680, v81
	v_add_f32_e32 v37, v37, v57
	v_add_f32_e32 v56, v85, v59
	v_mul_f32_e32 v57, 0xbf06c442, v83
	v_fmac_f32_e32 v48, 0x3f6eb680, v84
	v_fma_f32 v59, 0x3f6eb680, v5, -v81
	v_add_f32_e32 v53, v53, v61
	v_mul_f32_e32 v61, 0xbf06c442, v4
	v_fma_f32 v81, 0xbf59a7d5, v84, -v57
	v_add_f32_e32 v48, v48, v55
	v_add_f32_e32 v55, v59, v60
	v_mul_f32_e32 v59, 0x3f7ee86f, v83
	v_fmamk_f32 v60, v5, 0xbf59a7d5, v61
	v_fmac_f32_e32 v57, 0xbf59a7d5, v84
	v_fma_f32 v61, 0xbf59a7d5, v5, -v61
	v_add_f32_e32 v68, v81, v68
	v_fma_f32 v81, 0x3dbcf732, v84, -v59
	v_add_f32_e32 v60, v60, v69
	v_mul_f32_e32 v69, 0x3f7ee86f, v4
	v_add_f32_e32 v57, v57, v58
	v_add_f32_e32 v58, v61, v67
	v_mul_f32_e32 v67, 0xbf2c7751, v83
	v_add_f32_e32 v61, v81, v72
	v_fmamk_f32 v72, v5, 0x3dbcf732, v69
	v_fmac_f32_e32 v59, 0x3dbcf732, v84
	v_fma_f32 v69, 0x3dbcf732, v5, -v69
	v_mul_f32_e32 v81, 0xbf2c7751, v4
	v_fma_f32 v85, 0x3f3d2fb0, v84, -v67
	v_add_f32_e32 v71, v72, v71
	v_add_f32_e32 v59, v59, v70
	;; [unrolled: 1-line block ×3, first 2 shown]
	v_fmamk_f32 v69, v5, 0x3f3d2fb0, v81
	v_add_f32_e32 v70, v85, v76
	v_mul_f32_e32 v72, 0xbe3c28d5, v83
	v_fmac_f32_e32 v67, 0x3f3d2fb0, v84
	v_fma_f32 v76, 0x3f3d2fb0, v5, -v81
	v_add_f32_e32 v69, v69, v77
	v_mul_f32_e32 v77, 0xbe3c28d5, v4
	v_fma_f32 v81, 0xbf7ba420, v84, -v72
	v_add_f32_e32 v67, v67, v73
	v_add_f32_e32 v73, v76, v74
	v_mul_f32_e32 v74, 0x3f65296c, v83
	v_add_f32_e32 v80, v80, v87
	v_fmamk_f32 v76, v5, 0xbf7ba420, v77
	v_add_f32_e32 v78, v81, v78
	v_fmac_f32_e32 v72, 0xbf7ba420, v84
	v_fma_f32 v77, 0xbf7ba420, v5, -v77
	v_fma_f32 v81, 0x3ee437d1, v84, -v74
	v_add_f32_e32 v76, v76, v79
	v_mul_f32_e32 v4, 0x3f65296c, v4
	v_add_f32_e32 v72, v72, v75
	v_add_f32_e32 v75, v77, v82
	;; [unrolled: 1-line block ×3, first 2 shown]
	v_sub_f32_e32 v79, v7, v9
	v_sub_f32_e32 v81, v6, v8
	v_fmamk_f32 v80, v5, 0x3ee437d1, v4
	v_fmac_f32_e32 v74, 0x3ee437d1, v84
	v_add_f32_e32 v6, v8, v6
	v_mul_f32_e32 v8, 0xbf06c442, v79
	v_fma_f32 v4, 0x3ee437d1, v5, -v4
	v_add_f32_e32 v5, v9, v7
	v_mul_f32_e32 v7, 0xbf06c442, v81
	v_add_f32_e32 v9, v80, v49
	v_fma_f32 v49, 0xbf59a7d5, v6, -v8
	v_add_f32_e32 v54, v74, v54
	v_add_f32_e32 v4, v4, v36
	v_fmamk_f32 v36, v5, 0xbf59a7d5, v7
	v_mul_f32_e32 v74, 0x3f65296c, v79
	v_add_f32_e32 v38, v49, v38
	v_fmac_f32_e32 v8, 0xbf59a7d5, v6
	v_fma_f32 v7, 0xbf59a7d5, v5, -v7
	v_add_f32_e32 v36, v36, v52
	v_fma_f32 v49, 0x3ee437d1, v6, -v74
	v_mul_f32_e32 v52, 0x3f65296c, v81
	v_add_f32_e32 v8, v8, v10
	v_add_f32_e32 v7, v7, v11
	v_mul_f32_e32 v10, 0xbf7ee86f, v79
	v_add_f32_e32 v11, v49, v39
	v_fmamk_f32 v39, v5, 0x3ee437d1, v52
	v_fma_f32 v49, 0x3ee437d1, v5, -v52
	v_mul_f32_e32 v80, 0xbf7ee86f, v81
	v_fmac_f32_e32 v74, 0x3ee437d1, v6
	v_fma_f32 v52, 0x3dbcf732, v6, -v10
	v_add_f32_e32 v39, v39, v50
	v_add_f32_e32 v51, v49, v51
	v_fmamk_f32 v49, v5, 0x3dbcf732, v80
	v_mul_f32_e32 v50, 0x3f4c4adb, v79
	v_add_f32_e32 v37, v74, v37
	v_add_f32_e32 v52, v52, v56
	v_fmac_f32_e32 v10, 0x3dbcf732, v6
	v_fma_f32 v56, 0x3dbcf732, v5, -v80
	v_mul_f32_e32 v74, 0x3f4c4adb, v81
	v_add_f32_e32 v53, v49, v53
	v_fma_f32 v49, 0xbf1a4643, v6, -v50
	v_add_f32_e32 v10, v10, v48
	v_add_f32_e32 v55, v56, v55
	v_fmamk_f32 v48, v5, 0xbf1a4643, v74
	v_mul_f32_e32 v56, 0xbeb8f4ab, v79
	v_add_f32_e32 v68, v49, v68
	v_fma_f32 v49, 0xbf1a4643, v5, -v74
	v_fmac_f32_e32 v50, 0xbf1a4643, v6
	v_add_f32_e32 v60, v48, v60
	v_fma_f32 v48, 0x3f6eb680, v6, -v56
	v_mul_f32_e32 v74, 0xbeb8f4ab, v81
	v_add_f32_e32 v58, v49, v58
	v_mul_f32_e32 v49, 0xbe3c28d5, v79
	v_add_f32_e32 v57, v50, v57
	v_add_f32_e32 v61, v48, v61
	v_fmamk_f32 v48, v5, 0x3f6eb680, v74
	v_fmac_f32_e32 v56, 0x3f6eb680, v6
	v_fma_f32 v50, 0x3f6eb680, v5, -v74
	v_fma_f32 v74, 0xbf7ba420, v6, -v49
	v_mul_f32_e32 v80, 0xbe3c28d5, v81
	v_add_f32_e32 v71, v48, v71
	v_add_f32_e32 v56, v56, v59
	;; [unrolled: 1-line block ×4, first 2 shown]
	v_fmamk_f32 v48, v5, 0xbf7ba420, v80
	v_mul_f32_e32 v50, 0x3f2c7751, v79
	v_fmac_f32_e32 v49, 0xbf7ba420, v6
	v_mul_f32_e32 v74, 0x3f2c7751, v81
	v_fma_f32 v70, 0xbf7ba420, v5, -v80
	v_add_f32_e32 v69, v48, v69
	v_fma_f32 v48, 0x3f3d2fb0, v6, -v50
	v_add_f32_e32 v67, v49, v67
	v_fmamk_f32 v49, v5, 0x3f3d2fb0, v74
	v_add_f32_e32 v70, v70, v73
	v_mul_f32_e32 v73, 0xbf763a35, v79
	v_add_f32_e32 v78, v48, v78
	v_fma_f32 v48, 0x3f3d2fb0, v5, -v74
	v_add_f32_e32 v74, v49, v76
	v_mul_f32_e32 v76, 0xbf763a35, v81
	v_sub_f32_e32 v79, v1, v3
	v_sub_f32_e32 v81, v0, v2
	v_add_f32_e32 v75, v48, v75
	v_add_f32_e32 v80, v2, v0
	v_fmamk_f32 v48, v5, 0xbe8c1d8e, v76
	v_mul_f32_e32 v2, 0xbe3c28d5, v79
	v_fma_f32 v0, 0xbe8c1d8e, v5, -v76
	v_add_f32_e32 v76, v3, v1
	v_mul_f32_e32 v1, 0xbe3c28d5, v81
	v_mul_f32_e32 v5, 0x3eb8f4ab, v79
	v_fma_f32 v3, 0xbf7ba420, v80, -v2
	v_add_f32_e32 v83, v0, v4
	v_fmac_f32_e32 v2, 0xbf7ba420, v80
	v_fmamk_f32 v4, v76, 0xbf7ba420, v1
	v_fmac_f32_e32 v50, 0x3f3d2fb0, v6
	v_fma_f32 v49, 0xbe8c1d8e, v6, -v73
	v_fmac_f32_e32 v73, 0xbe8c1d8e, v6
	v_add_f32_e32 v82, v48, v9
	v_add_f32_e32 v0, v3, v38
	v_fma_f32 v3, 0xbf7ba420, v76, -v1
	v_add_f32_e32 v1, v4, v36
	v_mul_f32_e32 v4, 0x3eb8f4ab, v81
	v_fma_f32 v6, 0x3f6eb680, v80, -v5
	v_add_f32_e32 v48, v2, v8
	v_mul_f32_e32 v8, 0xbf06c442, v79
	v_add_f32_e32 v77, v49, v77
	v_add_f32_e32 v49, v3, v7
	v_fmamk_f32 v3, v76, 0x3f6eb680, v4
	v_add_f32_e32 v2, v6, v11
	v_fmac_f32_e32 v5, 0x3f6eb680, v80
	v_fma_f32 v4, 0x3f6eb680, v76, -v4
	v_fma_f32 v6, 0xbf59a7d5, v80, -v8
	v_mul_f32_e32 v7, 0xbf06c442, v81
	v_mul_f32_e32 v9, 0x3f2c7751, v79
	v_fmac_f32_e32 v8, 0xbf59a7d5, v80
	v_add_f32_e32 v72, v50, v72
	v_add_f32_e32 v50, v5, v37
	;; [unrolled: 1-line block ×4, first 2 shown]
	v_fmamk_f32 v4, v76, 0xbf59a7d5, v7
	v_fma_f32 v5, 0xbf59a7d5, v76, -v7
	v_mul_f32_e32 v11, 0x3f2c7751, v81
	v_fma_f32 v36, 0x3f3d2fb0, v80, -v9
	v_add_f32_e32 v52, v8, v10
	v_mul_f32_e32 v8, 0xbf4c4adb, v79
	v_add_f32_e32 v7, v4, v53
	v_add_f32_e32 v53, v5, v55
	v_fmamk_f32 v5, v76, 0x3f3d2fb0, v11
	v_add_f32_e32 v4, v36, v68
	v_fmac_f32_e32 v9, 0x3f3d2fb0, v80
	v_fma_f32 v10, 0x3f3d2fb0, v76, -v11
	v_mul_f32_e32 v11, 0xbf4c4adb, v81
	v_fma_f32 v36, 0xbf1a4643, v80, -v8
	v_mul_f32_e32 v37, 0x3f65296c, v79
	v_add_f32_e32 v73, v73, v54
	v_add_f32_e32 v54, v9, v57
	v_add_f32_e32 v55, v10, v58
	v_fmamk_f32 v9, v76, 0xbf1a4643, v11
	v_add_f32_e32 v10, v36, v61
	v_fmac_f32_e32 v8, 0xbf1a4643, v80
	v_fma_f32 v36, 0xbf1a4643, v76, -v11
	v_fma_f32 v38, 0x3ee437d1, v80, -v37
	v_add_f32_e32 v5, v5, v60
	v_add_f32_e32 v11, v9, v71
	v_mul_f32_e32 v9, 0x3f65296c, v81
	v_add_f32_e32 v56, v8, v56
	v_add_f32_e32 v57, v36, v59
	;; [unrolled: 1-line block ×3, first 2 shown]
	v_mul_f32_e32 v36, 0xbf763a35, v79
	v_fmac_f32_e32 v37, 0x3ee437d1, v80
	v_mul_f32_e32 v60, 0xbf763a35, v81
	v_mul_f32_e32 v66, 0x3f7ee86f, v79
	v_sub_f32_e32 v224, v19, v65
	v_add_f32_e32 v3, v3, v39
	v_fma_f32 v39, 0x3ee437d1, v76, -v9
	v_fma_f32 v61, 0xbe8c1d8e, v80, -v36
	v_add_f32_e32 v58, v37, v67
	v_fmamk_f32 v37, v76, 0xbe8c1d8e, v60
	v_fmac_f32_e32 v36, 0xbe8c1d8e, v80
	v_fma_f32 v68, 0x3dbcf732, v80, -v66
	v_add_f32_e32 v92, v64, v18
	v_mul_f32_e32 v90, 0xbeb8f4ab, v224
	v_sub_f32_e32 v184, v18, v64
	v_add_f32_e32 v59, v39, v70
	v_add_f32_e32 v39, v37, v74
	v_fma_f32 v37, 0xbe8c1d8e, v76, -v60
	v_add_f32_e32 v60, v36, v72
	v_add_f32_e32 v36, v68, v77
	v_fmamk_f32 v68, v92, 0x3f6eb680, v90
	v_add_f32_e32 v97, v65, v19
	v_mul_f32_e32 v96, 0xbeb8f4ab, v184
	v_fmamk_f32 v38, v76, 0x3ee437d1, v9
	v_mul_f32_e32 v99, 0xbf2c7751, v224
	v_add_f32_e32 v72, v68, v16
	v_mul_f32_e32 v100, 0xbf2c7751, v184
	v_fma_f32 v68, 0x3f6eb680, v97, -v96
	v_mul_f32_e32 v101, 0xbf65296c, v224
	v_mul_f32_e32 v102, 0xbf65296c, v184
	v_add_f32_e32 v9, v38, v69
	v_mul_f32_e32 v67, 0x3f7ee86f, v81
	v_fmac_f32_e32 v66, 0x3dbcf732, v80
	v_fmamk_f32 v69, v92, 0x3f3d2fb0, v99
	v_fma_f32 v70, 0x3f3d2fb0, v97, -v100
	v_add_f32_e32 v74, v68, v17
	v_fmamk_f32 v68, v92, 0x3ee437d1, v101
	v_fma_f32 v71, 0x3ee437d1, v97, -v102
	v_mul_f32_e32 v104, 0xbf7ee86f, v224
	v_sub_f32_e32 v229, v45, v15
	v_mul_f32_e32 v117, 0xbf7ee86f, v184
	v_mul_f32_e32 v118, 0xbf763a35, v224
	v_add_f32_e32 v38, v61, v78
	v_add_f32_e32 v61, v37, v75
	v_fmamk_f32 v37, v76, 0x3dbcf732, v67
	v_fma_f32 v67, 0x3dbcf732, v76, -v67
	v_add_f32_e32 v66, v66, v73
	v_add_f32_e32 v75, v69, v16
	;; [unrolled: 1-line block ×5, first 2 shown]
	v_fmamk_f32 v70, v92, 0x3dbcf732, v104
	v_add_f32_e32 v69, v14, v44
	v_mul_f32_e32 v68, 0xbf2c7751, v229
	v_fma_f32 v71, 0x3dbcf732, v97, -v117
	v_sub_f32_e32 v227, v44, v14
	v_fmamk_f32 v73, v92, 0xbe8c1d8e, v118
	v_add_f32_e32 v37, v37, v82
	v_add_f32_e32 v80, v70, v16
	v_fmamk_f32 v78, v69, 0x3f3d2fb0, v68
	v_add_f32_e32 v81, v71, v17
	v_add_f32_e32 v71, v15, v45
	v_mul_f32_e32 v70, 0xbf2c7751, v227
	v_add_f32_e32 v82, v73, v16
	v_mul_f32_e32 v73, 0xbf7ee86f, v227
	v_add_f32_e32 v67, v67, v83
	v_add_f32_e32 v83, v78, v72
	v_mul_f32_e32 v72, 0xbf7ee86f, v229
	v_fma_f32 v78, 0x3f3d2fb0, v71, -v70
	v_mul_f32_e32 v86, 0xbf4c4adb, v229
	v_fma_f32 v85, 0x3dbcf732, v71, -v73
	v_mul_f32_e32 v88, 0xbf4c4adb, v227
	v_fmamk_f32 v84, v69, 0x3dbcf732, v72
	v_add_f32_e32 v87, v78, v74
	v_fmamk_f32 v74, v69, 0xbf1a4643, v86
	v_add_f32_e32 v91, v85, v76
	v_mul_f32_e32 v78, 0xbe3c28d5, v229
	v_sub_f32_e32 v242, v47, v13
	v_mul_f32_e32 v85, 0xbe3c28d5, v227
	v_fma_f32 v89, 0xbf1a4643, v71, -v88
	v_add_f32_e32 v84, v84, v75
	v_add_f32_e32 v93, v74, v77
	v_fmamk_f32 v76, v69, 0xbf7ba420, v78
	v_mul_f32_e32 v113, 0x3f06c442, v229
	v_add_f32_e32 v75, v12, v46
	v_mul_f32_e32 v74, 0xbf65296c, v242
	v_fma_f32 v77, 0xbf7ba420, v71, -v85
	v_sub_f32_e32 v243, v46, v12
	v_add_f32_e32 v89, v89, v79
	v_add_f32_e32 v94, v76, v80
	v_fmamk_f32 v79, v69, 0xbf59a7d5, v113
	v_fmamk_f32 v80, v75, 0x3ee437d1, v74
	v_add_f32_e32 v95, v77, v81
	v_add_f32_e32 v77, v13, v47
	v_mul_f32_e32 v76, 0xbf65296c, v243
	v_mul_f32_e32 v107, 0x3e3c28d5, v243
	v_add_f32_e32 v98, v79, v82
	v_add_f32_e32 v106, v80, v83
	v_mul_f32_e32 v79, 0xbf4c4adb, v242
	v_mul_f32_e32 v81, 0xbf4c4adb, v243
	v_fma_f32 v80, 0x3ee437d1, v77, -v76
	v_mul_f32_e32 v105, 0x3e3c28d5, v242
	v_fma_f32 v103, 0xbf7ba420, v77, -v107
	v_fmamk_f32 v82, v75, 0xbf1a4643, v79
	v_fma_f32 v83, 0xbf1a4643, v77, -v81
	v_add_f32_e32 v109, v80, v87
	v_fmamk_f32 v80, v75, 0xbf7ba420, v105
	v_mul_f32_e32 v87, 0x3f763a35, v242
	v_add_f32_e32 v111, v103, v89
	v_sub_f32_e32 v245, v41, v23
	v_mul_f32_e32 v103, 0x3f763a35, v243
	v_add_f32_e32 v110, v82, v84
	v_add_f32_e32 v91, v83, v91
	;; [unrolled: 1-line block ×3, first 2 shown]
	v_fmamk_f32 v83, v75, 0xbe8c1d8e, v87
	v_add_f32_e32 v82, v22, v40
	v_mul_f32_e32 v80, 0xbf7ee86f, v245
	v_fma_f32 v84, 0xbe8c1d8e, v77, -v103
	v_sub_f32_e32 v246, v40, v22
	v_mul_f32_e32 v123, 0x3f2c7751, v242
	v_add_f32_e32 v114, v83, v94
	v_fmamk_f32 v94, v82, 0x3dbcf732, v80
	v_add_f32_e32 v115, v84, v95
	v_add_f32_e32 v84, v23, v41
	v_mul_f32_e32 v121, 0x3f763a35, v246
	v_fmamk_f32 v89, v75, 0x3f3d2fb0, v123
	v_mul_f32_e32 v83, 0xbf7ee86f, v246
	v_add_f32_e32 v120, v94, v106
	v_mul_f32_e32 v94, 0xbe3c28d5, v246
	v_fma_f32 v112, 0xbe8c1d8e, v84, -v121
	v_add_f32_e32 v116, v89, v98
	v_mul_f32_e32 v89, 0xbe3c28d5, v245
	v_fma_f32 v95, 0x3dbcf732, v84, -v83
	v_mul_f32_e32 v119, 0x3f763a35, v245
	v_fma_f32 v106, 0xbf7ba420, v84, -v94
	v_add_f32_e32 v111, v112, v111
	v_mul_f32_e32 v112, 0x3eb8f4ab, v246
	v_fmamk_f32 v98, v82, 0xbf7ba420, v89
	v_add_f32_e32 v109, v95, v109
	v_fmamk_f32 v95, v82, 0xbe8c1d8e, v119
	v_add_f32_e32 v124, v106, v91
	v_mul_f32_e32 v106, 0x3eb8f4ab, v245
	v_sub_f32_e32 v248, v43, v21
	v_mul_f32_e32 v128, 0xbf65296c, v245
	v_sub_f32_e32 v247, v42, v20
	v_fma_f32 v126, 0x3f6eb680, v84, -v112
	v_add_f32_e32 v122, v98, v110
	v_add_f32_e32 v125, v95, v93
	v_fmamk_f32 v110, v82, 0x3f6eb680, v106
	v_add_f32_e32 v93, v20, v42
	v_mul_f32_e32 v91, 0xbf763a35, v248
	v_add_f32_e32 v98, v21, v43
	v_mul_f32_e32 v95, 0xbf763a35, v247
	v_fmamk_f32 v127, v82, 0x3ee437d1, v128
	v_add_f32_e32 v131, v126, v115
	v_mul_f32_e32 v126, 0x3f2c7751, v248
	v_fmamk_f32 v129, v93, 0xbe8c1d8e, v91
	v_add_f32_e32 v130, v110, v114
	v_fma_f32 v115, 0xbe8c1d8e, v98, -v95
	v_add_f32_e32 v133, v127, v116
	v_mul_f32_e32 v110, 0x3f06c442, v248
	v_mul_f32_e32 v127, 0x3f2c7751, v247
	v_fmamk_f32 v116, v93, 0x3f3d2fb0, v126
	v_add_f32_e32 v129, v129, v120
	v_mul_f32_e32 v114, 0x3f06c442, v247
	v_add_f32_e32 v134, v115, v109
	v_fmamk_f32 v109, v93, 0xbf59a7d5, v110
	v_mul_f32_e32 v120, 0xbf65296c, v248
	v_fma_f32 v132, 0x3f3d2fb0, v98, -v127
	v_add_f32_e32 v176, v116, v125
	v_mul_f32_e32 v125, 0xbf65296c, v247
	v_fma_f32 v115, 0xbf59a7d5, v98, -v114
	v_add_f32_e32 v135, v109, v122
	v_fmamk_f32 v109, v93, 0x3ee437d1, v120
	v_add_f32_e32 v177, v132, v111
	v_sub_f32_e32 v249, v33, v27
	v_mul_f32_e32 v132, 0xbe3c28d5, v248
	v_fma_f32 v122, 0x3ee437d1, v98, -v125
	v_add_f32_e32 v175, v115, v124
	v_add_f32_e32 v178, v109, v130
	;; [unrolled: 1-line block ×3, first 2 shown]
	v_mul_f32_e32 v109, 0xbf4c4adb, v249
	v_sub_f32_e32 v250, v32, v26
	v_fmamk_f32 v124, v93, 0xbf7ba420, v132
	v_add_f32_e32 v185, v122, v131
	v_mul_lo_u16 v131, v167, 17
	v_add_f32_e32 v116, v27, v33
	v_fmamk_f32 v130, v111, 0xbf1a4643, v109
	v_mul_f32_e32 v115, 0xbf4c4adb, v250
	v_add_f32_e32 v186, v124, v133
	v_mul_f32_e32 v124, 0x3f763a35, v250
	v_and_b32_e32 v131, 0xffff, v131
	v_mul_f32_e32 v122, 0x3f763a35, v249
	v_add_f32_e32 v187, v130, v129
	v_fma_f32 v130, 0xbf1a4643, v116, -v115
	v_mul_f32_e32 v129, 0xbeb8f4ab, v249
	v_fma_f32 v188, 0xbe8c1d8e, v116, -v124
	v_lshl_add_u32 v189, v131, 3, v174
	v_mul_f32_e32 v197, 0x3f7ee86f, v249
	v_fmamk_f32 v133, v111, 0xbe8c1d8e, v122
	v_add_f32_e32 v134, v130, v134
	v_fmamk_f32 v130, v111, 0x3f6eb680, v129
	v_add_f32_e32 v175, v188, v175
	v_mul_f32_e32 v188, 0xbf06c442, v249
	s_barrier
	buffer_gl0_inv
	ds_write2_b64 v189, v[62:63], v[0:1] offset1:1
	v_mul_f32_e32 v191, 0xbf06c442, v250
	v_sub_f32_e32 v62, v35, v25
	ds_write2_b64 v189, v[2:3], v[6:7] offset0:2 offset1:3
	v_sub_f32_e32 v3, v34, v24
	v_fmamk_f32 v6, v111, 0x3dbcf732, v197
	v_add_f32_e32 v135, v133, v135
	v_mul_f32_e32 v194, 0xbeb8f4ab, v250
	v_add_f32_e32 v176, v130, v176
	v_fmamk_f32 v1, v111, 0xbf59a7d5, v188
	v_fma_f32 v2, 0xbf59a7d5, v116, -v191
	v_add_f32_e32 v130, v24, v34
	v_add_f32_e32 v133, v25, v35
	v_mul_f32_e32 v131, 0xbf06c442, v3
	v_add_f32_e32 v199, v6, v186
	v_mul_f32_e32 v186, 0x3f65296c, v62
	v_sub_f32_e32 v252, v28, v30
	v_fma_f32 v0, 0x3f6eb680, v116, -v194
	v_mul_f32_e32 v63, 0xbf06c442, v62
	v_add_f32_e32 v1, v1, v178
	v_add_f32_e32 v2, v2, v185
	ds_write2_b64 v189, v[4:5], v[10:11] offset0:4 offset1:5
	v_fma_f32 v4, 0xbf59a7d5, v133, -v131
	v_mul_f32_e32 v195, 0xbf7ee86f, v62
	v_fmamk_f32 v5, v130, 0x3ee437d1, v186
	v_sub_f32_e32 v251, v29, v31
	v_add_f32_e32 v185, v31, v29
	v_mul_f32_e32 v178, 0xbe3c28d5, v252
	v_add_f32_e32 v0, v0, v177
	v_fmamk_f32 v7, v130, 0xbf59a7d5, v63
	v_mul_f32_e32 v190, 0x3f65296c, v3
	ds_write2_b64 v189, v[8:9], v[38:39] offset0:6 offset1:7
	v_mul_f32_e32 v196, 0xbf7ee86f, v3
	v_add_f32_e32 v4, v4, v134
	v_fmamk_f32 v8, v130, 0x3dbcf732, v195
	v_add_f32_e32 v5, v5, v135
	v_mul_f32_e32 v193, 0x3f4c4adb, v3
	v_add_f32_e32 v177, v30, v28
	v_mul_f32_e32 v134, 0xbe3c28d5, v251
	v_mul_f32_e32 v135, 0x3eb8f4ab, v251
	v_fma_f32 v11, 0xbf7ba420, v185, -v178
	v_add_f32_e32 v6, v7, v187
	v_fma_f32 v7, 0x3ee437d1, v133, -v190
	v_fma_f32 v9, 0x3dbcf732, v133, -v196
	v_mul_f32_e32 v192, 0x3f4c4adb, v62
	v_add_f32_e32 v8, v8, v176
	ds_write2_b64 v189, v[36:37], v[66:67] offset0:8 offset1:9
	v_fmamk_f32 v10, v177, 0xbf7ba420, v134
	v_fmamk_f32 v36, v177, 0x3f6eb680, v135
	v_mul_f32_e32 v200, 0xbeb8f4ab, v62
	v_add_f32_e32 v176, v11, v4
	v_fma_f32 v4, 0xbf1a4643, v133, -v193
	v_mul_f32_e32 v223, 0xbf763a35, v184
	v_add_f32_e32 v7, v7, v175
	v_add_f32_e32 v0, v9, v0
	v_fmamk_f32 v9, v130, 0xbf1a4643, v192
	v_add_f32_e32 v175, v10, v6
	v_add_f32_e32 v6, v36, v5
	v_mul_f32_e32 v198, 0xbf06c442, v251
	v_fmamk_f32 v5, v130, 0x3f6eb680, v200
	v_add_f32_e32 v2, v4, v2
	v_fma_f32 v4, 0xbe8c1d8e, v97, -v223
	v_mul_f32_e32 v216, 0x3f06c442, v227
	v_mul_f32_e32 v187, 0x3eb8f4ab, v252
	v_add_f32_e32 v1, v9, v1
	v_fmamk_f32 v9, v177, 0xbf59a7d5, v198
	v_add_f32_e32 v36, v5, v199
	v_add_f32_e32 v5, v4, v17
	v_fma_f32 v10, 0xbf59a7d5, v71, -v216
	v_mul_f32_e32 v217, 0x3f2c7751, v243
	v_fma_f32 v37, 0x3f6eb680, v185, -v187
	v_mul_f32_e32 v199, 0xbf06c442, v252
	v_add_f32_e32 v4, v9, v8
	v_mul_f32_e32 v66, 0x3f2c7751, v251
	v_add_f32_e32 v5, v10, v5
	v_fma_f32 v8, 0x3f3d2fb0, v77, -v217
	v_mul_f32_e32 v218, 0xbf65296c, v246
	v_add_f32_e32 v7, v37, v7
	v_mul_f32_e32 v67, 0x3f2c7751, v252
	v_fma_f32 v9, 0xbf59a7d5, v185, -v199
	v_fmamk_f32 v10, v177, 0x3f3d2fb0, v66
	v_add_f32_e32 v8, v8, v5
	v_fma_f32 v37, 0x3ee437d1, v84, -v218
	v_mul_f32_e32 v219, 0xbe3c28d5, v247
	v_fma_f32 v11, 0x3f3d2fb0, v185, -v67
	v_mul_f32_e32 v212, 0xbf4c4adb, v251
	v_add_f32_e32 v5, v9, v0
	v_add_f32_e32 v10, v10, v1
	;; [unrolled: 1-line block ×3, first 2 shown]
	v_fma_f32 v1, 0xbf7ba420, v98, -v219
	v_mul_f32_e32 v220, 0x3f7ee86f, v250
	v_mul_f32_e32 v225, 0xbf4c4adb, v224
	v_add_f32_e32 v11, v11, v2
	v_fmamk_f32 v2, v177, 0xbf1a4643, v212
	v_add_f32_e32 v0, v1, v0
	v_fma_f32 v1, 0x3dbcf732, v116, -v220
	v_fmamk_f32 v9, v92, 0xbf1a4643, v225
	v_mul_f32_e32 v201, 0x3f763a35, v229
	v_mul_f32_e32 v226, 0xbf4c4adb, v184
	v_add_f32_e32 v8, v2, v36
	v_add_f32_e32 v0, v1, v0
	;; [unrolled: 1-line block ×3, first 2 shown]
	v_fmamk_f32 v2, v69, 0xbe8c1d8e, v201
	v_fma_f32 v9, 0xbf1a4643, v97, -v226
	v_mul_f32_e32 v206, 0x3f763a35, v227
	v_mul_f32_e32 v202, 0xbeb8f4ab, v242
	v_mul_f32_e32 v209, 0xbeb8f4ab, v243
	v_add_f32_e32 v1, v2, v1
	v_add_f32_e32 v2, v9, v17
	v_fma_f32 v9, 0xbe8c1d8e, v71, -v206
	v_fmamk_f32 v36, v75, 0x3f6eb680, v202
	v_mul_f32_e32 v203, 0xbf06c442, v245
	v_mul_f32_e32 v211, 0xbf06c442, v246
	v_mul_f32_e32 v205, 0x3f7ee86f, v248
	v_add_f32_e32 v2, v9, v2
	v_add_f32_e32 v1, v36, v1
	v_fma_f32 v9, 0x3f6eb680, v77, -v209
	v_fmamk_f32 v36, v82, 0xbf59a7d5, v203
	;; [unrolled: 7-line block ×3, first 2 shown]
	v_fma_f32 v37, 0x3f6eb680, v133, -v221
	v_mul_f32_e32 v222, 0xbf4c4adb, v252
	v_mul_f32_e32 v214, 0xbf2c7751, v250
	v_add_f32_e32 v2, v9, v2
	v_add_f32_e32 v1, v36, v1
	v_fma_f32 v9, 0x3dbcf732, v98, -v213
	v_fmamk_f32 v36, v111, 0x3f3d2fb0, v207
	v_add_f32_e32 v0, v37, v0
	v_fma_f32 v37, 0xbf1a4643, v185, -v222
	v_mul_f32_e32 v208, 0xbe3c28d5, v62
	v_add_f32_e32 v2, v9, v2
	v_add_f32_e32 v1, v36, v1
	v_fma_f32 v36, 0x3f3d2fb0, v116, -v214
	v_mul_f32_e32 v215, 0xbe3c28d5, v3
	v_mul_f32_e32 v239, 0xbf06c442, v224
	v_fmamk_f32 v38, v130, 0xbf7ba420, v208
	v_add_f32_e32 v9, v37, v0
	v_add_f32_e32 v0, v36, v2
	v_fma_f32 v2, 0xbf7ba420, v133, -v215
	v_mul_f32_e32 v204, 0x3f65296c, v251
	v_fmamk_f32 v36, v92, 0xbf59a7d5, v239
	v_mul_f32_e32 v228, 0x3f65296c, v229
	v_add_f32_e32 v1, v38, v1
	v_add_f32_e32 v0, v2, v0
	v_mul_f32_e32 v210, 0x3f65296c, v252
	v_fmamk_f32 v2, v177, 0x3ee437d1, v204
	v_add_f32_e32 v36, v36, v16
	v_fmamk_f32 v37, v69, 0x3ee437d1, v228
	v_mul_f32_e32 v230, 0xbf7ee86f, v242
	v_fma_f32 v39, 0x3ee437d1, v185, -v210
	v_add_f32_e32 v38, v2, v1
	v_mul_f32_e32 v244, 0xbf06c442, v184
	v_add_f32_e32 v1, v37, v36
	v_fmamk_f32 v2, v75, 0x3dbcf732, v230
	v_mul_f32_e32 v231, 0x3f4c4adb, v245
	v_add_f32_e32 v39, v39, v0
	v_fma_f32 v0, 0xbf59a7d5, v97, -v244
	v_mul_f32_e32 v236, 0x3f65296c, v227
	v_add_f32_e32 v1, v2, v1
	v_fmamk_f32 v2, v82, 0xbf1a4643, v231
	v_mul_f32_e32 v232, 0xbeb8f4ab, v248
	v_add_f32_e32 v0, v0, v17
	v_fma_f32 v36, 0x3ee437d1, v71, -v236
	;; [unrolled: 6-line block ×5, first 2 shown]
	v_mul_f32_e32 v229, 0x3eb8f4ab, v229
	v_add_f32_e32 v1, v2, v1
	v_mul_f32_e32 v2, 0xbe3c28d5, v224
	v_mul_f32_e32 v224, 0x3f2c7751, v3
	v_add_f32_e32 v0, v36, v0
	v_fma_f32 v36, 0xbf7ba420, v116, -v240
	v_mul_f32_e32 v184, 0xbe3c28d5, v184
	v_fma_f32 v253, 0xbf7ba420, v92, -v2
	v_fma_f32 v254, 0x3f6eb680, v69, -v229
	v_mul_f32_e32 v181, 0x3eb8f4ab, v227
	v_add_f32_e32 v0, v36, v0
	v_fma_f32 v36, 0x3f3d2fb0, v133, -v224
	v_add_f32_e32 v253, v253, v16
	v_fmamk_f32 v255, v97, 0xbf7ba420, v184
	v_mul_f32_e32 v242, 0xbf06c442, v242
	v_mul_f32_e32 v243, 0xbf06c442, v243
	v_add_f32_e32 v0, v36, v0
	v_add_f32_e32 v36, v254, v253
	;; [unrolled: 1-line block ×3, first 2 shown]
	v_fmamk_f32 v254, v71, 0x3f6eb680, v181
	v_fma_f32 v255, 0xbf59a7d5, v75, -v242
	v_mul_f32_e32 v245, 0x3f2c7751, v245
	v_mul_f32_e32 v235, 0xbf763a35, v251
	v_mul_f32_e32 v227, 0xbf763a35, v252
	v_add_f32_e32 v253, v254, v253
	v_add_f32_e32 v36, v255, v36
	v_fmamk_f32 v254, v77, 0xbf59a7d5, v243
	v_fma_f32 v255, 0x3f3d2fb0, v82, -v245
	v_mul_f32_e32 v246, 0x3f2c7751, v246
	v_fmamk_f32 v37, v177, 0xbe8c1d8e, v235
	v_fma_f32 v179, 0xbe8c1d8e, v185, -v227
	v_add_f32_e32 v253, v254, v253
	v_add_f32_e32 v254, v255, v36
	v_fmamk_f32 v255, v84, 0x3f3d2fb0, v246
	v_mul_f32_e32 v247, 0xbf4c4adb, v247
	v_add_f32_e32 v36, v37, v1
	v_add_f32_e32 v37, v179, v0
	v_mul_f32_e32 v248, 0xbf4c4adb, v248
	v_add_f32_e32 v0, v255, v253
	v_fmamk_f32 v1, v98, 0xbf1a4643, v247
	v_fmac_f32_e32 v2, 0xbf7ba420, v92
	v_fmac_f32_e32 v229, 0x3f6eb680, v69
	v_fma_f32 v183, 0xbf1a4643, v93, -v248
	v_fma_f32 v181, 0x3f6eb680, v71, -v181
	v_add_f32_e32 v0, v1, v0
	v_fma_f32 v1, 0xbf7ba420, v97, -v184
	v_add_f32_e32 v2, v2, v16
	v_add_f32_e32 v179, v183, v254
	v_mul_f32_e32 v183, 0x3f65296c, v249
	v_mul_f32_e32 v249, 0x3f65296c, v250
	v_add_f32_e32 v1, v1, v17
	v_add_f32_e32 v2, v229, v2
	v_fmac_f32_e32 v242, 0xbf59a7d5, v75
	v_fma_f32 v184, 0x3ee437d1, v111, -v183
	v_fmamk_f32 v250, v116, 0x3ee437d1, v249
	v_add_f32_e32 v1, v181, v1
	v_fma_f32 v181, 0xbf59a7d5, v77, -v243
	v_mul_f32_e32 v62, 0xbf763a35, v62
	v_mul_f32_e32 v3, 0xbf763a35, v3
	v_add_f32_e32 v2, v242, v2
	v_fmac_f32_e32 v245, 0x3f3d2fb0, v82
	v_add_f32_e32 v1, v181, v1
	v_fma_f32 v181, 0x3f3d2fb0, v84, -v246
	v_add_f32_e32 v179, v184, v179
	v_add_f32_e32 v0, v250, v0
	v_fma_f32 v184, 0xbe8c1d8e, v130, -v62
	v_fmamk_f32 v229, v133, 0xbe8c1d8e, v3
	v_add_f32_e32 v2, v245, v2
	v_fmac_f32_e32 v248, 0xbf1a4643, v93
	v_add_f32_e32 v1, v181, v1
	v_fma_f32 v181, 0xbf1a4643, v98, -v247
	v_add_f32_e32 v179, v184, v179
	v_add_f32_e32 v184, v229, v0
	;; [unrolled: 1-line block ×3, first 2 shown]
	v_fmac_f32_e32 v183, 0x3ee437d1, v111
	v_add_f32_e32 v1, v181, v1
	v_fma_f32 v2, 0x3ee437d1, v116, -v249
	v_mul_f32_e32 v181, 0x3f7ee86f, v251
	v_mul_f32_e32 v229, 0x3f7ee86f, v252
	v_add_f32_e32 v0, v183, v0
	v_fmac_f32_e32 v62, 0xbe8c1d8e, v130
	v_add_f32_e32 v1, v2, v1
	v_fma_f32 v2, 0xbe8c1d8e, v133, -v3
	v_fma_f32 v3, 0x3dbcf732, v177, -v181
	v_fmamk_f32 v183, v185, 0x3dbcf732, v229
	v_add_f32_e32 v242, v62, v0
	v_fmac_f32_e32 v181, 0x3dbcf732, v177
	v_add_f32_e32 v243, v2, v1
	v_fma_f32 v229, 0x3dbcf732, v185, -v229
	v_add_co_u32 v62, null, v167, 17
	v_add_f32_e32 v0, v3, v179
	v_add_f32_e32 v1, v183, v184
	;; [unrolled: 1-line block ×4, first 2 shown]
	v_mul_u32_u24_e32 v182, 17, v62
	ds_write2_b64 v189, v[60:61], v[58:59] offset0:10 offset1:11
	ds_write2_b64 v189, v[56:57], v[54:55] offset0:12 offset1:13
	;; [unrolled: 1-line block ×3, first 2 shown]
	ds_write_b64 v189, v[48:49] offset:128
	s_and_saveexec_b32 s2, vcc_lo
	s_cbranch_execz .LBB0_7
; %bb.6:
	v_add_f32_e32 v19, v19, v17
	v_add_f32_e32 v18, v18, v16
	;; [unrolled: 1-line block ×4, first 2 shown]
	v_mul_f32_e32 v44, 0x3dbcf732, v84
	v_mul_f32_e32 v45, 0xbf1a4643, v116
	v_add_f32_e32 v19, v47, v19
	v_add_f32_e32 v18, v46, v18
	;; [unrolled: 1-line block ×4, first 2 shown]
	v_mul_f32_e32 v41, 0x3f6eb680, v92
	v_mul_f32_e32 v40, 0x3f6eb680, v97
	v_add_f32_e32 v19, v43, v19
	v_add_f32_e32 v18, v42, v18
	v_sub_f32_e32 v41, v41, v90
	v_add_f32_e32 v40, v96, v40
	v_mul_f32_e32 v43, 0x3ee437d1, v130
	v_add_f32_e32 v19, v33, v19
	v_add_f32_e32 v18, v32, v18
	v_mul_f32_e32 v33, 0x3ee437d1, v92
	v_mul_f32_e32 v32, 0x3ee437d1, v97
	v_add_f32_e32 v41, v41, v16
	v_add_f32_e32 v19, v35, v19
	;; [unrolled: 1-line block ×3, first 2 shown]
	v_mul_f32_e32 v35, 0x3f3d2fb0, v92
	v_sub_f32_e32 v33, v33, v101
	v_mul_f32_e32 v34, 0x3f3d2fb0, v97
	v_add_f32_e32 v19, v29, v19
	v_add_f32_e32 v18, v28, v18
	v_mul_f32_e32 v29, 0xbe8c1d8e, v92
	v_mul_f32_e32 v28, 0xbe8c1d8e, v97
	v_sub_f32_e32 v35, v35, v99
	v_add_f32_e32 v19, v31, v19
	v_add_f32_e32 v18, v30, v18
	v_mul_f32_e32 v31, 0x3dbcf732, v92
	v_sub_f32_e32 v29, v29, v118
	v_mul_f32_e32 v30, 0x3dbcf732, v97
	v_add_f32_e32 v19, v25, v19
	v_add_f32_e32 v18, v24, v18
	v_mul_f32_e32 v25, 0xbf59a7d5, v92
	v_mul_f32_e32 v24, 0xbf59a7d5, v97
	v_sub_f32_e32 v31, v31, v104
	v_add_f32_e32 v19, v27, v19
	v_mul_f32_e32 v27, 0xbf1a4643, v92
	v_add_f32_e32 v18, v26, v18
	v_sub_f32_e32 v25, v25, v239
	v_mul_f32_e32 v26, 0xbf1a4643, v97
	v_add_f32_e32 v24, v244, v24
	v_sub_f32_e32 v27, v27, v225
	v_add_f32_e32 v28, v223, v28
	v_add_f32_e32 v30, v117, v30
	;; [unrolled: 1-line block ×21, first 2 shown]
	v_mul_f32_e32 v16, 0x3ee437d1, v71
	v_mul_f32_e32 v18, 0x3ee437d1, v69
	;; [unrolled: 1-line block ×3, first 2 shown]
	v_add_f32_e32 v22, v22, v17
	v_mul_f32_e32 v17, 0x3dbcf732, v77
	v_add_f32_e32 v16, v236, v16
	v_sub_f32_e32 v18, v18, v228
	v_add_f32_e32 v19, v240, v19
	v_mul_f32_e32 v21, 0x3f3d2fb0, v75
	v_add_f32_e32 v17, v237, v17
	v_add_f32_e32 v16, v16, v24
	v_mul_f32_e32 v24, 0xbf7ba420, v75
	v_sub_f32_e32 v43, v43, v186
	v_sub_f32_e32 v21, v21, v123
	v_add_f32_e32 v12, v12, v22
	v_add_f32_e32 v16, v17, v16
	v_mul_f32_e32 v17, 0xbf1a4643, v84
	v_sub_f32_e32 v24, v24, v105
	v_add_f32_e32 v12, v14, v12
	v_add_f32_e32 v17, v238, v17
	;; [unrolled: 1-line block ×3, first 2 shown]
	v_mul_f32_e32 v17, 0x3f6eb680, v98
	v_add_f32_e32 v17, v241, v17
	v_add_f32_e32 v16, v17, v16
	;; [unrolled: 1-line block ×3, first 2 shown]
	v_mul_f32_e32 v18, 0x3dbcf732, v75
	v_add_f32_e32 v16, v19, v16
	v_mul_f32_e32 v19, 0x3f3d2fb0, v133
	v_sub_f32_e32 v18, v18, v230
	v_add_f32_e32 v19, v224, v19
	v_add_f32_e32 v17, v18, v17
	v_mul_f32_e32 v18, 0xbf1a4643, v82
	v_add_f32_e32 v16, v19, v16
	v_mul_f32_e32 v19, 0xbe8c1d8e, v185
	v_sub_f32_e32 v18, v18, v231
	v_add_f32_e32 v19, v227, v19
	v_add_f32_e32 v17, v18, v17
	v_mul_f32_e32 v18, 0x3f6eb680, v93
	v_sub_f32_e32 v18, v18, v232
	v_add_f32_e32 v17, v18, v17
	v_mul_f32_e32 v18, 0xbf7ba420, v111
	v_sub_f32_e32 v18, v18, v233
	;; [unrolled: 3-line block ×4, first 2 shown]
	v_add_f32_e32 v17, v19, v16
	v_mul_f32_e32 v19, 0x3f3d2fb0, v77
	v_add_f32_e32 v16, v20, v18
	v_mul_f32_e32 v18, 0xbf59a7d5, v71
	;; [unrolled: 2-line block ×3, first 2 shown]
	v_add_f32_e32 v18, v216, v18
	v_sub_f32_e32 v20, v20, v113
	v_add_f32_e32 v18, v18, v28
	v_mul_f32_e32 v28, 0xbf7ba420, v69
	v_add_f32_e32 v20, v20, v29
	v_mul_f32_e32 v29, 0xbe8c1d8e, v75
	;; [unrolled: 2-line block ×4, first 2 shown]
	v_sub_f32_e32 v28, v28, v78
	v_sub_f32_e32 v29, v29, v87
	v_add_f32_e32 v19, v218, v19
	v_sub_f32_e32 v21, v21, v128
	v_add_f32_e32 v28, v28, v31
	v_add_f32_e32 v18, v19, v18
	v_mul_f32_e32 v19, 0xbf7ba420, v98
	v_add_f32_e32 v28, v29, v28
	v_mul_f32_e32 v29, 0x3f6eb680, v82
	v_add_f32_e32 v19, v219, v19
	v_sub_f32_e32 v29, v29, v106
	v_add_f32_e32 v18, v19, v18
	v_mul_f32_e32 v19, 0x3dbcf732, v116
	v_add_f32_e32 v19, v220, v19
	v_add_f32_e32 v18, v19, v18
	;; [unrolled: 1-line block ×3, first 2 shown]
	v_mul_f32_e32 v20, 0xbf7ba420, v93
	v_mul_f32_e32 v21, 0x3f6eb680, v133
	v_sub_f32_e32 v20, v20, v132
	v_add_f32_e32 v21, v221, v21
	v_add_f32_e32 v19, v20, v19
	v_mul_f32_e32 v20, 0x3dbcf732, v111
	v_add_f32_e32 v18, v21, v18
	v_mul_f32_e32 v21, 0xbf1a4643, v185
	v_sub_f32_e32 v20, v20, v197
	v_add_f32_e32 v21, v222, v21
	v_add_f32_e32 v19, v20, v19
	v_mul_f32_e32 v20, 0x3f6eb680, v130
	v_sub_f32_e32 v20, v20, v200
	v_add_f32_e32 v20, v20, v19
	v_mul_f32_e32 v19, 0xbf1a4643, v177
	v_sub_f32_e32 v23, v19, v212
	v_add_f32_e32 v19, v21, v18
	v_mul_f32_e32 v21, 0xbf7ba420, v77
	v_add_f32_e32 v18, v23, v20
	v_mul_f32_e32 v20, 0xbf1a4643, v71
	;; [unrolled: 2-line block ×3, first 2 shown]
	v_add_f32_e32 v20, v88, v20
	v_sub_f32_e32 v23, v23, v86
	v_add_f32_e32 v20, v20, v32
	v_add_f32_e32 v23, v23, v33
	v_mul_f32_e32 v33, 0xbf1a4643, v75
	v_add_f32_e32 v20, v21, v20
	v_mul_f32_e32 v21, 0xbe8c1d8e, v84
	;; [unrolled: 2-line block ×3, first 2 shown]
	v_sub_f32_e32 v33, v33, v79
	v_add_f32_e32 v21, v121, v21
	v_sub_f32_e32 v24, v24, v119
	v_add_f32_e32 v20, v21, v20
	v_mul_f32_e32 v21, 0x3f3d2fb0, v98
	v_add_f32_e32 v21, v127, v21
	v_add_f32_e32 v20, v21, v20
	v_mul_f32_e32 v21, 0x3f6eb680, v116
	v_add_f32_e32 v21, v194, v21
	v_add_f32_e32 v20, v21, v20
	;; [unrolled: 1-line block ×3, first 2 shown]
	v_mul_f32_e32 v23, 0x3f3d2fb0, v93
	v_mul_f32_e32 v24, 0x3dbcf732, v133
	v_sub_f32_e32 v23, v23, v126
	v_add_f32_e32 v24, v196, v24
	v_add_f32_e32 v21, v23, v21
	v_mul_f32_e32 v23, 0x3f6eb680, v111
	v_add_f32_e32 v20, v24, v20
	v_mul_f32_e32 v24, 0xbf59a7d5, v185
	v_sub_f32_e32 v23, v23, v129
	v_add_f32_e32 v24, v199, v24
	v_add_f32_e32 v21, v23, v21
	v_mul_f32_e32 v23, 0x3dbcf732, v130
	v_sub_f32_e32 v23, v23, v195
	v_add_f32_e32 v23, v23, v21
	v_mul_f32_e32 v21, 0xbf59a7d5, v177
	v_sub_f32_e32 v25, v21, v198
	v_add_f32_e32 v21, v24, v20
	v_mul_f32_e32 v24, 0x3f6eb680, v77
	v_add_f32_e32 v20, v25, v23
	v_mul_f32_e32 v23, 0xbe8c1d8e, v71
	;; [unrolled: 2-line block ×3, first 2 shown]
	v_add_f32_e32 v23, v206, v23
	v_sub_f32_e32 v25, v25, v201
	v_add_f32_e32 v23, v23, v26
	v_mul_f32_e32 v26, 0x3f3d2fb0, v116
	v_add_f32_e32 v23, v24, v23
	v_mul_f32_e32 v24, 0xbf59a7d5, v84
	v_add_f32_e32 v26, v214, v26
	v_add_f32_e32 v24, v211, v24
	;; [unrolled: 1-line block ×3, first 2 shown]
	v_mul_f32_e32 v24, 0x3dbcf732, v98
	v_add_f32_e32 v24, v213, v24
	v_add_f32_e32 v23, v24, v23
	;; [unrolled: 1-line block ×3, first 2 shown]
	v_mul_f32_e32 v25, 0x3f6eb680, v75
	v_mul_f32_e32 v27, 0xbf7ba420, v71
	v_add_f32_e32 v23, v26, v23
	v_mul_f32_e32 v26, 0xbf7ba420, v133
	v_sub_f32_e32 v25, v25, v202
	v_add_f32_e32 v27, v85, v27
	v_add_f32_e32 v26, v215, v26
	;; [unrolled: 1-line block ×3, first 2 shown]
	v_mul_f32_e32 v25, 0xbf59a7d5, v82
	v_add_f32_e32 v23, v26, v23
	v_mul_f32_e32 v26, 0xbe8c1d8e, v77
	v_sub_f32_e32 v25, v25, v203
	v_add_f32_e32 v26, v103, v26
	v_add_f32_e32 v24, v25, v24
	v_mul_f32_e32 v25, 0x3dbcf732, v93
	v_sub_f32_e32 v25, v25, v205
	v_add_f32_e32 v24, v25, v24
	v_mul_f32_e32 v25, 0x3f3d2fb0, v111
	v_sub_f32_e32 v25, v25, v207
	v_add_f32_e32 v24, v25, v24
	v_add_f32_e32 v25, v27, v30
	v_mul_f32_e32 v27, 0xbf7ba420, v130
	v_mul_f32_e32 v30, 0x3ee437d1, v185
	v_add_f32_e32 v25, v26, v25
	v_mul_f32_e32 v26, 0x3f6eb680, v84
	v_sub_f32_e32 v27, v27, v208
	v_add_f32_e32 v30, v210, v30
	v_add_f32_e32 v26, v112, v26
	v_add_f32_e32 v31, v27, v24
	v_mul_f32_e32 v27, 0xbf1a4643, v133
	v_add_f32_e32 v23, v30, v23
	v_lshl_add_u32 v30, v182, 3, v174
	v_add_f32_e32 v25, v26, v25
	v_mul_f32_e32 v26, 0x3ee437d1, v98
	v_add_f32_e32 v27, v193, v27
	v_add_f32_e32 v26, v125, v26
	;; [unrolled: 1-line block ×3, first 2 shown]
	v_mul_f32_e32 v26, 0xbf59a7d5, v116
	v_add_f32_e32 v26, v191, v26
	v_add_f32_e32 v24, v26, v25
	v_mul_f32_e32 v26, 0x3ee437d1, v93
	v_add_f32_e32 v25, v29, v28
	v_mul_f32_e32 v29, 0x3f3d2fb0, v185
	v_mul_f32_e32 v28, 0x3ee437d1, v177
	v_add_f32_e32 v24, v27, v24
	v_sub_f32_e32 v26, v26, v120
	v_mul_f32_e32 v27, 0x3dbcf732, v71
	v_add_f32_e32 v29, v67, v29
	v_sub_f32_e32 v28, v28, v204
	v_add_f32_e32 v25, v26, v25
	v_mul_f32_e32 v26, 0xbf59a7d5, v111
	v_add_f32_e32 v27, v73, v27
	v_sub_f32_e32 v26, v26, v188
	v_add_f32_e32 v25, v26, v25
	v_mul_f32_e32 v26, 0xbf1a4643, v130
	v_sub_f32_e32 v26, v26, v192
	v_add_f32_e32 v32, v26, v25
	v_mul_f32_e32 v26, 0xbf1a4643, v77
	v_add_f32_e32 v25, v27, v34
	v_mul_f32_e32 v27, 0x3dbcf732, v69
	v_mul_f32_e32 v34, 0x3f3d2fb0, v177
	v_add_f32_e32 v26, v81, v26
	v_sub_f32_e32 v27, v27, v72
	v_sub_f32_e32 v34, v34, v66
	v_add_f32_e32 v25, v26, v25
	v_mul_f32_e32 v26, 0xbf7ba420, v84
	v_add_f32_e32 v27, v27, v35
	v_mul_f32_e32 v35, 0x3ee437d1, v77
	v_add_f32_e32 v26, v94, v26
	v_add_f32_e32 v27, v33, v27
	v_mul_f32_e32 v33, 0xbf7ba420, v82
	v_add_f32_e32 v35, v76, v35
	v_add_f32_e32 v25, v26, v25
	v_mul_f32_e32 v26, 0xbf59a7d5, v98
	v_sub_f32_e32 v33, v33, v89
	v_add_f32_e32 v26, v114, v26
	v_add_f32_e32 v27, v33, v27
	v_mul_f32_e32 v33, 0xbf59a7d5, v93
	v_add_f32_e32 v25, v26, v25
	v_mul_f32_e32 v26, 0xbe8c1d8e, v116
	v_sub_f32_e32 v33, v33, v110
	v_add_f32_e32 v26, v124, v26
	v_add_f32_e32 v27, v33, v27
	v_mul_f32_e32 v33, 0xbe8c1d8e, v111
	v_add_f32_e32 v25, v26, v25
	v_mul_f32_e32 v26, 0x3ee437d1, v133
	v_sub_f32_e32 v33, v33, v122
	v_add_f32_e32 v26, v190, v26
	v_add_f32_e32 v26, v26, v25
	v_add_f32_e32 v25, v33, v27
	v_mul_f32_e32 v27, 0x3f3d2fb0, v71
	v_mul_f32_e32 v33, 0x3f3d2fb0, v69
	v_add_f32_e32 v43, v43, v25
	v_add_f32_e32 v27, v70, v27
	v_sub_f32_e32 v33, v33, v68
	v_add_f32_e32 v25, v29, v24
	v_add_f32_e32 v24, v13, v42
	;; [unrolled: 1-line block ×3, first 2 shown]
	v_mul_f32_e32 v40, 0x3ee437d1, v75
	v_add_f32_e32 v33, v33, v41
	v_add_f32_e32 v41, v83, v44
	v_mul_f32_e32 v44, 0xbe8c1d8e, v98
	v_add_f32_e32 v27, v35, v27
	v_sub_f32_e32 v40, v40, v74
	v_mul_f32_e32 v35, 0x3dbcf732, v82
	v_add_f32_e32 v24, v15, v24
	v_add_f32_e32 v27, v41, v27
	;; [unrolled: 1-line block ×3, first 2 shown]
	v_sub_f32_e32 v35, v35, v80
	v_mul_f32_e32 v40, 0xbe8c1d8e, v93
	v_add_f32_e32 v41, v95, v44
	v_mul_f32_e32 v44, 0x3f6eb680, v185
	v_add_f32_e32 v33, v35, v33
	v_sub_f32_e32 v35, v40, v91
	v_add_f32_e32 v27, v41, v27
	v_mul_f32_e32 v40, 0xbf1a4643, v111
	v_add_f32_e32 v41, v115, v45
	v_mul_f32_e32 v45, 0xbf59a7d5, v133
	v_add_f32_e32 v33, v35, v33
	v_add_f32_e32 v44, v187, v44
	v_sub_f32_e32 v35, v40, v109
	v_add_f32_e32 v27, v41, v27
	v_mul_f32_e32 v40, 0xbf59a7d5, v130
	v_add_f32_e32 v41, v131, v45
	v_mul_f32_e32 v45, 0xbf7ba420, v185
	v_add_f32_e32 v33, v35, v33
	;; [unrolled: 7-line block ×3, first 2 shown]
	v_sub_f32_e32 v26, v41, v134
	v_add_f32_e32 v15, v40, v27
	v_sub_f32_e32 v29, v45, v135
	v_add_f32_e32 v27, v65, v24
	v_add_f32_e32 v24, v34, v32
	;; [unrolled: 1-line block ×6, first 2 shown]
	ds_write2_b64 v30, v[26:27], v[14:15] offset1:1
	ds_write2_b64 v30, v[12:13], v[20:21] offset0:2 offset1:3
	ds_write2_b64 v30, v[24:25], v[18:19] offset0:4 offset1:5
	;; [unrolled: 1-line block ×7, first 2 shown]
	ds_write_b64 v30, v[175:176] offset:128
.LBB0_7:
	s_or_b32 exec_lo, exec_lo, s2
	v_add_co_u32 v63, null, v167, 34
	v_add_co_u32 v65, null, v167, 51
	;; [unrolled: 1-line block ×3, first 2 shown]
	v_and_b32_e32 v20, 0xff, v63
	v_and_b32_e32 v21, 0xff, v65
	v_lshlrev_b32_e32 v64, 5, v167
	v_and_b32_e32 v22, 0xff, v66
	s_waitcnt lgkmcnt(0)
	v_mul_lo_u16 v20, 0xf1, v20
	v_mul_lo_u16 v21, 0xf1, v21
	s_barrier
	buffer_gl0_inv
	s_clause 0x1
	global_load_dwordx4 v[16:19], v64, s[0:1]
	global_load_dwordx4 v[12:15], v64, s[0:1] offset:16
	v_lshrrev_b16 v20, 12, v20
	v_lshrrev_b16 v21, 12, v21
	v_add_nc_u32_e32 v128, 0x800, v180
	v_lshl_add_u32 v184, v167, 3, v174
	s_add_u32 s2, s6, 0xd48
	v_mul_lo_u16 v20, v20, 17
	v_mul_lo_u16 v21, v21, 17
	s_addc_u32 s3, s7, 0
	v_sub_nc_u16 v69, v63, v20
	v_mul_lo_u16 v20, 0xf1, v22
	v_sub_nc_u16 v68, v65, v21
	v_lshlrev_b16 v22, 2, v69
	v_lshrrev_b16 v20, 12, v20
	v_and_b32_e32 v69, 0xff, v69
	v_and_b32_e32 v21, 0xfc, v22
	v_mul_lo_u16 v20, v20, 17
	v_lshlrev_b16 v22, 2, v68
	v_and_b32_e32 v68, 0xff, v68
	v_lshlrev_b32_e32 v21, 3, v21
	v_sub_nc_u16 v67, v66, v20
	v_and_b32_e32 v20, 0xfc, v22
	global_load_dwordx4 v[44:47], v21, s[0:1]
	v_lshlrev_b16 v22, 2, v67
	v_lshlrev_b32_e32 v20, 3, v20
	s_clause 0x1
	global_load_dwordx4 v[40:43], v21, s[0:1] offset:16
	global_load_dwordx4 v[32:35], v20, s[0:1]
	v_and_b32_e32 v21, 0xfc, v22
	v_lshlrev_b32_e32 v21, 3, v21
	s_clause 0x2
	global_load_dwordx4 v[28:31], v20, s[0:1] offset:16
	global_load_dwordx4 v[24:27], v21, s[0:1]
	global_load_dwordx4 v[20:23], v21, s[0:1] offset:16
	ds_read2_b64 v[48:51], v180 offset0:68 offset1:85
	ds_read2_b64 v[70:73], v180 offset0:170 offset1:187
	;; [unrolled: 1-line block ×6, first 2 shown]
	ds_read2_b64 v[56:59], v180 offset1:17
	ds_read2_b64 v[52:55], v180 offset0:34 offset1:51
	ds_read2_b64 v[90:93], v180 offset0:204 offset1:221
	;; [unrolled: 1-line block ×3, first 2 shown]
	ds_read_b64 v[106:107], v180 offset:3264
	ds_read2_b64 v[98:101], v128 offset0:118 offset1:135
	ds_read2_b64 v[102:105], v128 offset0:50 offset1:67
	s_waitcnt vmcnt(7) lgkmcnt(12)
	v_mul_f32_e32 v61, v50, v17
	s_waitcnt lgkmcnt(11)
	v_mul_f32_e32 v109, v71, v19
	v_mul_f32_e32 v110, v70, v19
	s_waitcnt vmcnt(6) lgkmcnt(10)
	v_mul_f32_e32 v111, v77, v13
	v_mul_f32_e32 v112, v76, v13
	s_waitcnt lgkmcnt(9)
	v_mul_f32_e32 v114, v78, v15
	v_mul_f32_e32 v60, v51, v17
	v_mul_f32_e32 v113, v79, v15
	s_waitcnt lgkmcnt(8)
	v_mul_f32_e32 v115, v83, v17
	;; [unrolled: 4-line block ×3, first 2 shown]
	v_mul_f32_e32 v120, v86, v13
	v_mul_f32_e32 v121, v81, v15
	v_fmac_f32_e32 v61, v51, v16
	v_fma_f32 v51, v70, v18, -v109
	v_fmac_f32_e32 v110, v71, v18
	v_fma_f32 v70, v76, v12, -v111
	v_fmac_f32_e32 v112, v77, v12
	v_fmac_f32_e32 v114, v79, v14
	v_mul_f32_e32 v116, v82, v17
	v_mul_f32_e32 v122, v80, v15
	v_fma_f32 v50, v50, v16, -v60
	v_fma_f32 v109, v78, v14, -v113
	;; [unrolled: 1-line block ×4, first 2 shown]
	v_fmac_f32_e32 v118, v73, v18
	v_fma_f32 v76, v86, v12, -v119
	v_fmac_f32_e32 v120, v87, v12
	v_fma_f32 v82, v80, v14, -v121
	v_add_f32_e32 v73, v51, v70
	s_waitcnt lgkmcnt(6)
	v_add_f32_e32 v87, v57, v61
	v_add_f32_e32 v111, v110, v112
	;; [unrolled: 1-line block ×3, first 2 shown]
	v_fmac_f32_e32 v122, v81, v14
	v_add_f32_e32 v72, v56, v50
	v_sub_f32_e32 v81, v61, v114
	v_sub_f32_e32 v77, v50, v51
	;; [unrolled: 1-line block ×3, first 2 shown]
	v_add_f32_e32 v79, v50, v109
	v_sub_f32_e32 v80, v51, v50
	v_sub_f32_e32 v113, v50, v109
	;; [unrolled: 1-line block ×5, first 2 shown]
	v_add_f32_e32 v124, v58, v60
	v_sub_f32_e32 v129, v60, v71
	v_add_f32_e32 v131, v60, v82
	v_sub_f32_e32 v132, v71, v60
	v_sub_f32_e32 v177, v60, v82
	v_fma_f32 v60, -0.5, v73, v56
	v_add_f32_e32 v73, v87, v110
	v_fma_f32 v61, -0.5, v111, v57
	v_fma_f32 v57, -0.5, v119, v57
	v_fmac_f32_e32 v116, v83, v16
	v_sub_f32_e32 v83, v110, v112
	v_sub_f32_e32 v86, v70, v109
	;; [unrolled: 1-line block ×4, first 2 shown]
	v_add_f32_e32 v125, v71, v76
	v_sub_f32_e32 v178, v71, v76
	v_add_f32_e32 v72, v72, v51
	v_add_f32_e32 v186, v77, v78
	v_fma_f32 v56, -0.5, v79, v56
	v_add_f32_e32 v77, v124, v71
	v_add_f32_e32 v112, v73, v112
	v_fmamk_f32 v71, v113, 0xbf737871, v61
	v_fmac_f32_e32 v61, 0x3f737871, v113
	v_fmamk_f32 v73, v115, 0x3f737871, v57
	v_fmac_f32_e32 v57, 0xbf737871, v115
	v_sub_f32_e32 v127, v118, v120
	v_add_f32_e32 v86, v80, v86
	v_add_f32_e32 v87, v50, v117
	;; [unrolled: 1-line block ×3, first 2 shown]
	v_fma_f32 v50, -0.5, v125, v58
	v_fma_f32 v58, -0.5, v131, v58
	v_add_f32_e32 v80, v72, v70
	v_fmamk_f32 v72, v83, 0xbf737871, v56
	v_fmac_f32_e32 v56, 0x3f737871, v83
	v_fmac_f32_e32 v71, 0xbf167918, v115
	;; [unrolled: 1-line block ×5, first 2 shown]
	v_sub_f32_e32 v126, v116, v122
	v_fmamk_f32 v78, v127, 0xbf737871, v58
	v_fmac_f32_e32 v58, 0x3f737871, v127
	v_add_f32_e32 v80, v80, v109
	v_fmac_f32_e32 v72, 0x3f167918, v81
	v_fmac_f32_e32 v56, 0xbf167918, v81
	;; [unrolled: 1-line block ×6, first 2 shown]
	s_waitcnt vmcnt(5)
	v_mul_f32_e32 v87, v84, v45
	s_waitcnt lgkmcnt(4)
	v_mul_f32_e32 v109, v91, v47
	v_mul_f32_e32 v110, v90, v47
	s_waitcnt vmcnt(1) lgkmcnt(3)
	v_mul_f32_e32 v123, v97, v25
	v_mul_f32_e32 v124, v96, v25
	;; [unrolled: 1-line block ×3, first 2 shown]
	v_sub_f32_e32 v130, v82, v76
	v_sub_f32_e32 v133, v76, v82
	v_add_f32_e32 v119, v77, v76
	v_fmamk_f32 v76, v126, 0x3f737871, v50
	v_fmac_f32_e32 v50, 0xbf737871, v126
	v_fmac_f32_e32 v78, 0x3f167918, v126
	;; [unrolled: 1-line block ×5, first 2 shown]
	v_mul_f32_e32 v86, v85, v45
	v_mul_f32_e32 v126, v74, v27
	v_fmac_f32_e32 v87, v85, v44
	v_fma_f32 v85, v90, v46, -v109
	v_fmac_f32_e32 v110, v91, v46
	v_fma_f32 v90, v96, v24, -v123
	;; [unrolled: 2-line block ×3, first 2 shown]
	buffer_store_dword v24, off, s[20:23], 0 offset:32 ; 4-byte Folded Spill
	buffer_store_dword v25, off, s[20:23], 0 offset:36 ; 4-byte Folded Spill
	;; [unrolled: 1-line block ×4, first 2 shown]
	v_add_f32_e32 v111, v129, v130
	v_fmac_f32_e32 v76, 0x3f167918, v127
	v_fmac_f32_e32 v50, 0xbf167918, v127
	s_waitcnt vmcnt(0) lgkmcnt(0)
	v_mul_f32_e32 v127, v105, v21
	v_mul_f32_e32 v129, v104, v21
	;; [unrolled: 1-line block ×4, first 2 shown]
	v_add_f32_e32 v134, v59, v116
	v_fma_f32 v96, v104, v20, -v127
	v_fmac_f32_e32 v129, v105, v20
	v_fma_f32 v104, v106, v22, -v130
	buffer_store_dword v20, off, s[20:23], 0 offset:16 ; 4-byte Folded Spill
	buffer_store_dword v21, off, s[20:23], 0 offset:20 ; 4-byte Folded Spill
	buffer_store_dword v22, off, s[20:23], 0 offset:24 ; 4-byte Folded Spill
	buffer_store_dword v23, off, s[20:23], 0 offset:28 ; 4-byte Folded Spill
	v_add_f32_e32 v135, v118, v120
	v_add_f32_e32 v183, v116, v122
	;; [unrolled: 1-line block ×3, first 2 shown]
	v_sub_f32_e32 v179, v116, v118
	v_sub_f32_e32 v181, v122, v120
	v_fma_f32 v51, -0.5, v135, v59
	v_fmac_f32_e32 v59, -0.5, v183
	v_sub_f32_e32 v116, v118, v116
	v_sub_f32_e32 v185, v120, v122
	v_add_f32_e32 v120, v79, v120
	v_fmamk_f32 v77, v177, 0xbf737871, v51
	v_fmac_f32_e32 v51, 0x3f737871, v177
	v_fmamk_f32 v79, v178, 0x3f737871, v59
	v_fmac_f32_e32 v59, 0xbf737871, v178
	;; [unrolled: 2-line block ×3, first 2 shown]
	v_add_f32_e32 v81, v112, v114
	v_fmac_f32_e32 v76, 0x3e9e377a, v111
	v_fmac_f32_e32 v50, 0x3e9e377a, v111
	v_mul_f32_e32 v111, v89, v41
	v_mul_f32_e32 v112, v88, v41
	;; [unrolled: 1-line block ×3, first 2 shown]
	v_add_f32_e32 v117, v132, v133
	v_add_f32_e32 v118, v179, v181
	v_add_f32_e32 v116, v116, v185
	v_fmac_f32_e32 v77, 0xbf167918, v178
	v_fmac_f32_e32 v51, 0x3f167918, v178
	;; [unrolled: 1-line block ×6, first 2 shown]
	v_add_f32_e32 v83, v120, v122
	v_mul_f32_e32 v113, v99, v43
	v_mul_f32_e32 v115, v95, v33
	;; [unrolled: 1-line block ×3, first 2 shown]
	v_fma_f32 v84, v84, v44, -v86
	v_fma_f32 v88, v88, v40, -v111
	v_fmac_f32_e32 v112, v89, v40
	v_fmac_f32_e32 v114, v99, v42
	v_add_f32_e32 v82, v119, v82
	v_fmac_f32_e32 v78, 0x3e9e377a, v117
	v_fmac_f32_e32 v58, 0x3e9e377a, v117
	;; [unrolled: 1-line block ×6, first 2 shown]
	v_mul_f32_e32 v116, v94, v33
	v_mul_f32_e32 v117, v93, v35
	v_mul_f32_e32 v118, v92, v35
	v_mul_f32_e32 v119, v103, v29
	v_mul_f32_e32 v121, v101, v31
	v_mul_f32_e32 v122, v100, v31
	v_fma_f32 v109, v98, v42, -v113
	v_fma_f32 v86, v94, v32, -v115
	v_fmac_f32_e32 v120, v103, v28
	v_add_f32_e32 v74, v52, v84
	v_add_f32_e32 v103, v110, v112
	;; [unrolled: 1-line block ×3, first 2 shown]
	v_fmac_f32_e32 v116, v95, v32
	v_fma_f32 v89, v92, v34, -v117
	v_fmac_f32_e32 v118, v93, v34
	v_fma_f32 v92, v102, v28, -v119
	v_fma_f32 v99, v100, v30, -v121
	v_fmac_f32_e32 v122, v101, v30
	v_sub_f32_e32 v93, v84, v85
	v_sub_f32_e32 v94, v109, v88
	v_add_f32_e32 v95, v84, v109
	v_sub_f32_e32 v105, v84, v109
	v_add_f32_e32 v115, v54, v86
	v_add_f32_e32 v183, v48, v90
	v_sub_f32_e32 v188, v90, v91
	v_add_f32_e32 v191, v90, v104
	v_sub_f32_e32 v192, v91, v90
	v_sub_f32_e32 v196, v90, v104
	v_add_f32_e32 v90, v74, v85
	v_sub_f32_e32 v97, v85, v84
	;; [unrolled: 3-line block ×4, first 2 shown]
	v_add_f32_e32 v127, v86, v99
	v_sub_f32_e32 v130, v89, v86
	v_add_f32_e32 v134, v118, v120
	v_sub_f32_e32 v135, v86, v99
	v_sub_f32_e32 v86, v116, v118
	;; [unrolled: 1-line block ×3, first 2 shown]
	v_add_f32_e32 v185, v91, v96
	v_add_f32_e32 v133, v55, v116
	v_add_f32_e32 v179, v116, v122
	v_sub_f32_e32 v101, v87, v114
	v_sub_f32_e32 v102, v110, v112
	v_sub_f32_e32 v87, v110, v87
	v_sub_f32_e32 v113, v112, v114
	v_sub_f32_e32 v177, v89, v92
	v_add_f32_e32 v199, v93, v94
	v_add_f32_e32 v94, v115, v89
	v_sub_f32_e32 v197, v91, v96
	v_add_f32_e32 v200, v97, v98
	v_add_f32_e32 v93, v100, v110
	;; [unrolled: 1-line block ×3, first 2 shown]
	v_fmac_f32_e32 v70, 0x3e9e377a, v186
	v_fmac_f32_e32 v60, 0x3e9e377a, v186
	v_sub_f32_e32 v119, v116, v122
	v_sub_f32_e32 v125, v99, v92
	v_add_f32_e32 v115, v86, v178
	v_fma_f32 v86, -0.5, v185, v48
	v_sub_f32_e32 v121, v118, v120
	v_add_f32_e32 v194, v49, v124
	v_add_f32_e32 v110, v87, v113
	v_fma_f32 v48, -0.5, v191, v48
	v_add_f32_e32 v100, v90, v88
	v_sub_f32_e32 v132, v92, v99
	v_sub_f32_e32 v190, v104, v96
	;; [unrolled: 1-line block ×5, first 2 shown]
	s_waitcnt_vscnt null, 0x0
	s_barrier
	buffer_gl0_inv
	ds_write2_b64 v180, v[80:81], v[70:71] offset1:17
	ds_write2_b64 v180, v[72:73], v[56:57] offset0:34 offset1:51
	ds_write2_b64 v180, v[60:61], v[82:83] offset0:68 offset1:85
	v_and_b32_e32 v56, 0xff, v67
	v_add_f32_e32 v100, v100, v109
	v_add_f32_e32 v113, v130, v132
	v_add_f32_e32 v116, v116, v181
	ds_write2_b64 v180, v[76:77], v[78:79] offset0:102 offset1:119
	ds_write2_b64 v180, v[58:59], v[50:51] offset0:136 offset1:153
	v_fmac_f32_e32 v126, v75, v26
	v_add_f32_e32 v75, v85, v88
	v_fma_f32 v85, -0.5, v134, v55
	v_fmac_f32_e32 v55, -0.5, v179
	v_add_f32_e32 v195, v126, v129
	v_fma_f32 v74, -0.5, v75, v52
	v_fma_f32 v75, -0.5, v103, v53
	v_fma_f32 v53, -0.5, v111, v53
	v_fma_f32 v52, -0.5, v95, v52
	v_add_f32_e32 v95, v133, v118
	v_sub_f32_e32 v187, v126, v129
	v_fmac_f32_e32 v131, v107, v22
	v_sub_f32_e32 v107, v114, v112
	v_fmamk_f32 v89, v105, 0xbf737871, v75
	v_fmac_f32_e32 v75, 0x3f737871, v105
	v_fmamk_f32 v91, v106, 0x3f737871, v53
	v_add_f32_e32 v198, v124, v131
	v_fmac_f32_e32 v53, 0xbf737871, v106
	v_sub_f32_e32 v186, v124, v131
	v_add_f32_e32 v107, v84, v107
	v_fma_f32 v84, -0.5, v117, v54
	v_fma_f32 v54, -0.5, v127, v54
	;; [unrolled: 1-line block ×3, first 2 shown]
	v_fmamk_f32 v90, v102, 0xbf737871, v52
	v_fmac_f32_e32 v52, 0x3f737871, v102
	v_fmac_f32_e32 v89, 0xbf167918, v106
	;; [unrolled: 1-line block ×3, first 2 shown]
	v_fmamk_f32 v88, v101, 0x3f737871, v74
	v_fmac_f32_e32 v74, 0xbf737871, v101
	v_add_f32_e32 v103, v93, v112
	v_add_f32_e32 v112, v94, v92
	v_fmac_f32_e32 v91, 0xbf167918, v105
	v_fmac_f32_e32 v53, 0x3f167918, v105
	v_fmac_f32_e32 v49, -0.5, v198
	v_add_f32_e32 v111, v123, v125
	v_fmamk_f32 v92, v119, 0x3f737871, v84
	v_fmamk_f32 v93, v135, 0xbf737871, v85
	v_add_f32_e32 v125, v97, v96
	v_fmamk_f32 v96, v186, 0x3f737871, v86
	v_fmac_f32_e32 v86, 0xbf737871, v186
	v_fmamk_f32 v94, v121, 0xbf737871, v54
	v_fmac_f32_e32 v54, 0x3f737871, v121
	v_add_f32_e32 v120, v95, v120
	v_fmamk_f32 v95, v177, 0x3f737871, v55
	v_fmac_f32_e32 v55, 0xbf737871, v177
	v_fmac_f32_e32 v84, 0xbf737871, v119
	v_fmac_f32_e32 v85, 0x3f737871, v135
	v_add_f32_e32 v123, v194, v126
	v_fmamk_f32 v98, v187, 0xbf737871, v48
	v_fmac_f32_e32 v48, 0x3f737871, v187
	v_fmamk_f32 v97, v196, 0xbf737871, v87
	v_fmac_f32_e32 v90, 0x3f167918, v101
	v_fmac_f32_e32 v52, 0xbf167918, v101
	;; [unrolled: 1-line block ×4, first 2 shown]
	v_sub_f32_e32 v106, v124, v126
	v_sub_f32_e32 v107, v131, v129
	v_fmac_f32_e32 v88, 0x3f167918, v102
	v_fmac_f32_e32 v74, 0xbf167918, v102
	v_add_f32_e32 v102, v112, v99
	v_fmac_f32_e32 v91, 0x3e9e377a, v110
	v_fmac_f32_e32 v53, 0x3e9e377a, v110
	v_fmac_f32_e32 v87, 0x3f737871, v196
	v_fmamk_f32 v99, v197, 0x3f737871, v49
	v_sub_f32_e32 v109, v126, v124
	v_sub_f32_e32 v110, v129, v131
	v_fmac_f32_e32 v49, 0xbf737871, v197
	v_fmac_f32_e32 v92, 0x3f167918, v121
	;; [unrolled: 1-line block ×5, first 2 shown]
	v_lshl_add_u32 v187, v68, 3, v174
	v_fmac_f32_e32 v94, 0x3f167918, v119
	v_fmac_f32_e32 v54, 0xbf167918, v119
	;; [unrolled: 1-line block ×6, first 2 shown]
	v_add_f32_e32 v117, v188, v190
	v_add_f32_e32 v118, v192, v193
	v_fmac_f32_e32 v98, 0x3f167918, v186
	v_fmac_f32_e32 v48, 0xbf167918, v186
	;; [unrolled: 1-line block ×4, first 2 shown]
	v_add_f32_e32 v105, v123, v129
	v_fmac_f32_e32 v97, 0xbf167918, v197
	v_add_f32_e32 v106, v106, v107
	v_lshl_add_u32 v188, v69, 3, v174
	v_lshl_add_u32 v186, v56, 3, v174
	v_add_f32_e32 v101, v103, v114
	v_fmac_f32_e32 v88, 0x3e9e377a, v199
	v_fmac_f32_e32 v74, 0x3e9e377a, v199
	;; [unrolled: 1-line block ×4, first 2 shown]
	v_add_f32_e32 v107, v109, v110
	v_fmac_f32_e32 v49, 0x3f167918, v196
	v_add_f32_e32 v103, v120, v122
	v_fmac_f32_e32 v92, 0x3e9e377a, v111
	v_fmac_f32_e32 v93, 0x3e9e377a, v115
	v_add_nc_u32_e32 v50, 0x400, v187
	v_fmac_f32_e32 v94, 0x3e9e377a, v113
	v_fmac_f32_e32 v54, 0x3e9e377a, v113
	;; [unrolled: 1-line block ×4, first 2 shown]
	v_add_nc_u32_e32 v51, 0x800, v187
	v_fmac_f32_e32 v84, 0x3e9e377a, v111
	v_fmac_f32_e32 v85, 0x3e9e377a, v115
	v_add_f32_e32 v104, v125, v104
	v_fmac_f32_e32 v96, 0x3e9e377a, v117
	v_fmac_f32_e32 v48, 0x3e9e377a, v118
	v_add_f32_e32 v105, v105, v131
	v_fmac_f32_e32 v97, 0x3e9e377a, v106
	ds_write2_b64 v188, v[90:91], v[52:53] offset0:204 offset1:221
	v_add_nc_u32_e32 v52, 0x800, v186
	v_fmac_f32_e32 v86, 0x3e9e377a, v117
	v_fmac_f32_e32 v98, 0x3e9e377a, v118
	;; [unrolled: 1-line block ×5, first 2 shown]
	ds_write2_b64 v188, v[100:101], v[88:89] offset0:170 offset1:187
	ds_write_b64 v188, v[74:75] offset:1904
	ds_write2_b64 v50, v[102:103], v[92:93] offset0:127 offset1:144
	ds_write2_b64 v51, v[94:95], v[54:55] offset0:33 offset1:50
	ds_write_b64 v187, v[84:85] offset:2584
	ds_write2_b64 v52, v[104:105], v[96:97] offset0:84 offset1:101
	ds_write2_b64 v52, v[98:99], v[48:49] offset0:118 offset1:135
	ds_write_b64 v186, v[86:87] offset:3264
	v_lshlrev_b32_e32 v48, 5, v62
	v_lshlrev_b32_e32 v49, 5, v63
	s_waitcnt lgkmcnt(0)
	s_barrier
	buffer_gl0_inv
	s_clause 0x4
	global_load_dwordx4 v[72:75], v64, s[0:1] offset:544
	global_load_dwordx4 v[80:83], v64, s[0:1] offset:560
	;; [unrolled: 1-line block ×5, first 2 shown]
	v_lshlrev_b32_e32 v48, 5, v65
	s_clause 0x1
	global_load_dwordx4 v[76:79], v49, s[0:1] offset:560
	global_load_dwordx4 v[52:55], v48, s[0:1] offset:544
	v_lshlrev_b32_e32 v49, 5, v66
	s_clause 0x2
	global_load_dwordx4 v[64:67], v48, s[0:1] offset:560
	global_load_dwordx4 v[60:63], v49, s[0:1] offset:544
	;; [unrolled: 1-line block ×3, first 2 shown]
	ds_read2_b64 v[92:95], v180 offset0:68 offset1:85
	ds_read2_b64 v[96:99], v180 offset0:170 offset1:187
	;; [unrolled: 1-line block ×6, first 2 shown]
	ds_read2_b64 v[102:105], v180 offset1:17
	ds_read2_b64 v[88:91], v180 offset0:34 offset1:51
	ds_read2_b64 v[129:132], v180 offset0:204 offset1:221
	;; [unrolled: 1-line block ×5, first 2 shown]
	ds_read_b64 v[133:134], v180 offset:3264
	s_waitcnt vmcnt(9) lgkmcnt(12)
	v_mul_f32_e32 v100, v95, v73
	v_mul_f32_e32 v127, v94, v73
	s_waitcnt lgkmcnt(11)
	v_mul_f32_e32 v101, v97, v75
	s_waitcnt vmcnt(8) lgkmcnt(10)
	v_mul_f32_e32 v177, v114, v81
	s_waitcnt lgkmcnt(9)
	v_mul_f32_e32 v179, v116, v83
	v_mul_f32_e32 v181, v115, v83
	s_waitcnt vmcnt(5) lgkmcnt(8)
	v_mul_f32_e32 v209, v121, v69
	s_waitcnt vmcnt(4) lgkmcnt(3)
	v_mul_f32_e32 v215, v190, v79
	v_mul_f32_e32 v135, v96, v75
	;; [unrolled: 1-line block ×14, first 2 shown]
	s_waitcnt vmcnt(3) lgkmcnt(2)
	v_mul_f32_e32 v216, v195, v53
	v_fma_f32 v94, v94, v72, -v100
	v_fmac_f32_e32 v127, v95, v72
	v_fma_f32 v95, v96, v74, -v101
	v_fma_f32 v100, v113, v80, -v177
	;; [unrolled: 1-line block ×3, first 2 shown]
	v_fmac_f32_e32 v181, v116, v82
	v_fmac_f32_e32 v209, v122, v68
	;; [unrolled: 1-line block ×3, first 2 shown]
	v_mul_f32_e32 v207, v117, v87
	v_mul_f32_e32 v211, v129, v71
	;; [unrolled: 1-line block ×6, first 2 shown]
	s_waitcnt vmcnt(2) lgkmcnt(1)
	v_mul_f32_e32 v221, v198, v65
	v_mul_f32_e32 v222, v193, v67
	;; [unrolled: 1-line block ×3, first 2 shown]
	s_waitcnt vmcnt(1)
	v_mul_f32_e32 v224, v197, v61
	v_mul_f32_e32 v225, v112, v63
	;; [unrolled: 1-line block ×3, first 2 shown]
	s_waitcnt vmcnt(0)
	v_mul_f32_e32 v226, v201, v49
	s_waitcnt lgkmcnt(0)
	v_mul_f32_e32 v227, v134, v51
	v_mul_f32_e32 v110, v133, v51
	v_fmac_f32_e32 v135, v97, v74
	v_fmac_f32_e32 v178, v114, v80
	v_fma_f32 v96, v119, v56, -v183
	v_fmac_f32_e32 v185, v120, v56
	v_fma_f32 v97, v98, v58, -v202
	;; [unrolled: 2-line block ×4, first 2 shown]
	v_fma_f32 v113, v121, v68, -v208
	v_fma_f32 v119, v129, v70, -v210
	;; [unrolled: 1-line block ×5, first 2 shown]
	v_add_f32_e32 v115, v102, v94
	v_add_f32_e32 v116, v95, v100
	;; [unrolled: 1-line block ×3, first 2 shown]
	v_sub_f32_e32 v121, v95, v94
	v_sub_f32_e32 v122, v100, v179
	v_add_f32_e32 v123, v103, v127
	v_add_f32_e32 v129, v127, v181
	;; [unrolled: 1-line block ×3, first 2 shown]
	v_mul_f32_e32 v220, v199, v65
	v_mul_f32_e32 v109, v200, v49
	v_fmac_f32_e32 v207, v118, v86
	v_fmac_f32_e32 v211, v130, v70
	;; [unrolled: 1-line block ×4, first 2 shown]
	v_fma_f32 v204, v131, v54, -v218
	v_fmac_f32_e32 v219, v132, v54
	v_fmac_f32_e32 v221, v199, v64
	v_fma_f32 v191, v192, v66, -v222
	v_fmac_f32_e32 v223, v193, v66
	v_fma_f32 v101, v196, v60, -v224
	v_fma_f32 v99, v111, v62, -v225
	v_fmac_f32_e32 v107, v112, v62
	v_fma_f32 v111, v200, v48, -v226
	v_fma_f32 v112, v133, v50, -v227
	v_fmac_f32_e32 v110, v134, v50
	v_sub_f32_e32 v193, v127, v181
	v_sub_f32_e32 v194, v135, v178
	;; [unrolled: 1-line block ×4, first 2 shown]
	v_add_f32_e32 v124, v135, v178
	v_sub_f32_e32 v195, v95, v100
	v_sub_f32_e32 v125, v127, v135
	;; [unrolled: 1-line block ×5, first 2 shown]
	v_add_f32_e32 v131, v104, v96
	v_add_f32_e32 v132, v97, v98
	v_sub_f32_e32 v133, v96, v97
	v_sub_f32_e32 v134, v183, v98
	v_add_f32_e32 v190, v96, v183
	v_add_f32_e32 v199, v105, v185
	;; [unrolled: 1-line block ×5, first 2 shown]
	v_sub_f32_e32 v224, v113, v119
	v_add_f32_e32 v226, v113, v202
	v_sub_f32_e32 v227, v119, v113
	v_add_f32_e32 v229, v89, v209
	v_sub_f32_e32 v231, v113, v202
	v_sub_f32_e32 v232, v119, v177
	v_add_f32_e32 v237, v90, v114
	v_add_f32_e32 v95, v115, v95
	v_fma_f32 v113, -0.5, v116, v102
	v_fma_f32 v115, -0.5, v120, v102
	v_add_f32_e32 v102, v121, v122
	v_add_f32_e32 v135, v123, v135
	v_fma_f32 v116, -0.5, v129, v103
	v_fma_f32 v122, -0.5, v235, v89
	v_mul_f32_e32 v106, v196, v61
	v_fma_f32 v206, v198, v64, -v220
	v_fmac_f32_e32 v109, v201, v48
	v_sub_f32_e32 v94, v94, v179
	v_sub_f32_e32 v196, v185, v207
	;; [unrolled: 1-line block ×5, first 2 shown]
	v_add_f32_e32 v212, v185, v207
	v_sub_f32_e32 v220, v209, v215
	v_add_f32_e32 v230, v211, v213
	v_sub_f32_e32 v233, v209, v211
	v_sub_f32_e32 v209, v211, v209
	;; [unrolled: 1-line block ×4, first 2 shown]
	v_add_f32_e32 v243, v114, v191
	v_sub_f32_e32 v244, v204, v114
	v_add_f32_e32 v246, v91, v217
	v_add_f32_e32 v247, v219, v221
	v_sub_f32_e32 v248, v114, v191
	v_add_f32_e32 v249, v117, v118
	v_fma_f32 v114, -0.5, v124, v103
	v_add_f32_e32 v250, v125, v126
	v_add_f32_e32 v103, v127, v130
	;; [unrolled: 1-line block ×3, first 2 shown]
	v_fma_f32 v117, -0.5, v132, v104
	v_add_f32_e32 v251, v133, v134
	v_fma_f32 v104, -0.5, v190, v104
	v_add_f32_e32 v130, v199, v203
	;; [unrolled: 2-line block ×3, first 2 shown]
	v_fma_f32 v119, -0.5, v218, v88
	v_fma_f32 v121, -0.5, v226, v88
	v_add_f32_e32 v88, v229, v211
	v_add_f32_e32 v190, v237, v204
	;; [unrolled: 1-line block ×4, first 2 shown]
	v_fmamk_f32 v126, v195, 0x3f737871, v116
	v_fmac_f32_e32 v116, 0xbf737871, v195
	v_fmamk_f32 v178, v232, 0x3f737871, v122
	v_fmac_f32_e32 v122, 0xbf737871, v232
	v_fmac_f32_e32 v106, v197, v60
	v_sub_f32_e32 v197, v203, v205
	v_sub_f32_e32 v208, v97, v98
	;; [unrolled: 1-line block ×5, first 2 shown]
	v_add_f32_e32 v252, v192, v198
	v_fmac_f32_e32 v105, -0.5, v212
	v_fma_f32 v120, -0.5, v230, v89
	v_add_f32_e32 v89, v209, v236
	v_add_f32_e32 v212, v246, v219
	v_fma_f32 v97, -0.5, v247, v91
	v_fmamk_f32 v123, v193, 0x3f737871, v113
	v_fmac_f32_e32 v113, 0xbf737871, v193
	v_fmamk_f32 v125, v194, 0xbf737871, v115
	v_fmac_f32_e32 v115, 0x3f737871, v194
	;; [unrolled: 2-line block ×3, first 2 shown]
	v_add_f32_e32 v98, v127, v98
	v_fmamk_f32 v129, v196, 0x3f737871, v117
	v_fmac_f32_e32 v117, 0xbf737871, v196
	v_add_f32_e32 v127, v130, v205
	v_fmamk_f32 v130, v201, 0xbf737871, v118
	v_fmac_f32_e32 v118, 0x3f737871, v201
	v_add_f32_e32 v198, v88, v213
	v_add_f32_e32 v205, v190, v206
	v_fmac_f32_e32 v126, 0xbf167918, v94
	v_fmac_f32_e32 v116, 0x3f167918, v94
	;; [unrolled: 1-line block ×4, first 2 shown]
	v_add_f32_e32 v94, v217, v223
	v_sub_f32_e32 v242, v191, v206
	v_sub_f32_e32 v245, v206, v191
	v_add_f32_e32 v199, v96, v210
	v_fmamk_f32 v131, v197, 0xbf737871, v104
	v_fmac_f32_e32 v104, 0x3f737871, v197
	v_add_f32_e32 v192, v95, v179
	v_fmac_f32_e32 v123, 0x3f167918, v194
	v_fmac_f32_e32 v113, 0xbf167918, v194
	;; [unrolled: 1-line block ×4, first 2 shown]
	v_add_f32_e32 v193, v100, v181
	v_add_f32_e32 v194, v98, v183
	v_fmac_f32_e32 v129, 0x3f167918, v197
	v_fmac_f32_e32 v117, 0xbf167918, v197
	;; [unrolled: 1-line block ×4, first 2 shown]
	v_add_f32_e32 v197, v198, v215
	v_add_f32_e32 v198, v205, v191
	v_fmac_f32_e32 v178, 0x3e9e377a, v89
	v_fmac_f32_e32 v122, 0x3e9e377a, v89
	v_add_f32_e32 v89, v212, v221
	v_fmamk_f32 v191, v248, 0xbf737871, v97
	v_sub_f32_e32 v95, v204, v206
	v_sub_f32_e32 v98, v217, v219
	;; [unrolled: 1-line block ×3, first 2 shown]
	v_fmac_f32_e32 v91, -0.5, v94
	v_fmac_f32_e32 v97, 0x3f737871, v248
	v_fmac_f32_e32 v125, 0x3e9e377a, v102
	;; [unrolled: 1-line block ×5, first 2 shown]
	v_add_f32_e32 v199, v89, v223
	v_fmac_f32_e32 v191, 0xbf167918, v95
	v_add_f32_e32 v98, v98, v100
	v_fmamk_f32 v89, v95, 0x3f737871, v91
	v_sub_f32_e32 v94, v219, v217
	v_sub_f32_e32 v100, v221, v223
	v_fmac_f32_e32 v97, 0x3f167918, v95
	v_add_f32_e32 v102, v99, v111
	v_fmac_f32_e32 v91, 0xbf737871, v95
	v_add_f32_e32 v95, v92, v101
	v_add_f32_e32 v135, v133, v177
	v_fmac_f32_e32 v124, 0xbf167918, v195
	v_fmac_f32_e32 v114, 0x3f167918, v195
	v_add_f32_e32 v195, v127, v207
	v_fmac_f32_e32 v126, 0x3e9e377a, v103
	v_fmac_f32_e32 v116, 0x3e9e377a, v103
	v_add_f32_e32 v103, v94, v100
	v_fma_f32 v94, -0.5, v102, v92
	v_sub_f32_e32 v127, v106, v110
	v_add_f32_e32 v95, v95, v99
	v_fmac_f32_e32 v131, 0x3f167918, v196
	v_fmac_f32_e32 v104, 0xbf167918, v196
	v_add_f32_e32 v196, v135, v202
	v_fmac_f32_e32 v191, 0x3e9e377a, v98
	v_fmac_f32_e32 v97, 0x3e9e377a, v98
	v_fmamk_f32 v100, v127, 0x3f737871, v94
	v_sub_f32_e32 v135, v107, v109
	v_sub_f32_e32 v98, v101, v99
	;; [unrolled: 1-line block ×3, first 2 shown]
	v_fmac_f32_e32 v94, 0xbf737871, v127
	v_add_f32_e32 v179, v101, v112
	v_add_f32_e32 v95, v95, v111
	v_fmac_f32_e32 v100, 0x3f167918, v135
	v_add_f32_e32 v102, v98, v102
	v_fmac_f32_e32 v94, 0xbf167918, v135
	v_fma_f32 v92, -0.5, v179, v92
	v_add_f32_e32 v98, v95, v112
	v_add_f32_e32 v95, v93, v106
	v_fmac_f32_e32 v89, 0xbf167918, v248
	v_fmac_f32_e32 v91, 0x3f167918, v248
	;; [unrolled: 1-line block ×4, first 2 shown]
	v_fmamk_f32 v102, v135, 0xbf737871, v92
	v_fmac_f32_e32 v92, 0x3f737871, v135
	v_add_f32_e32 v135, v95, v107
	v_fmac_f32_e32 v89, 0x3e9e377a, v103
	v_fmac_f32_e32 v91, 0x3e9e377a, v103
	v_add_f32_e32 v103, v107, v109
	v_sub_f32_e32 v179, v99, v101
	v_sub_f32_e32 v181, v111, v112
	v_fmac_f32_e32 v102, 0x3f167918, v127
	v_fmac_f32_e32 v92, 0xbf167918, v127
	v_add_f32_e32 v127, v135, v109
	v_add_f32_e32 v135, v106, v110
	;; [unrolled: 1-line block ×3, first 2 shown]
	v_fma_f32 v95, -0.5, v103, v93
	v_add_f32_e32 v103, v179, v181
	v_sub_f32_e32 v111, v99, v111
	v_fmac_f32_e32 v93, -0.5, v135
	v_sub_f32_e32 v222, v211, v213
	v_sub_f32_e32 v239, v217, v223
	;; [unrolled: 1-line block ×3, first 2 shown]
	v_fma_f32 v96, -0.5, v238, v90
	v_fma_f32 v90, -0.5, v243, v90
	v_sub_f32_e32 v112, v101, v112
	v_sub_f32_e32 v185, v203, v185
	v_fmamk_f32 v132, v208, 0x3f737871, v105
	v_fmac_f32_e32 v105, 0xbf737871, v208
	v_fmac_f32_e32 v102, 0x3e9e377a, v103
	v_fmac_f32_e32 v92, 0x3e9e377a, v103
	v_add_f32_e32 v99, v127, v110
	v_sub_f32_e32 v127, v106, v107
	v_fmamk_f32 v103, v111, 0x3f737871, v93
	v_sub_f32_e32 v106, v107, v106
	v_sub_f32_e32 v107, v109, v110
	v_fmac_f32_e32 v93, 0xbf737871, v111
	v_sub_f32_e32 v225, v202, v177
	v_sub_f32_e32 v228, v177, v202
	v_sub_f32_e32 v234, v215, v213
	v_fmamk_f32 v133, v220, 0x3f737871, v119
	v_fmac_f32_e32 v119, 0xbf737871, v220
	v_fmamk_f32 v177, v222, 0xbf737871, v121
	v_fmac_f32_e32 v121, 0x3f737871, v222
	v_fmamk_f32 v134, v231, 0xbf737871, v120
	v_fmac_f32_e32 v120, 0x3f737871, v231
	v_fmamk_f32 v190, v239, 0x3f737871, v96
	v_fmac_f32_e32 v96, 0xbf737871, v239
	v_fmamk_f32 v88, v240, 0xbf737871, v90
	v_fmac_f32_e32 v90, 0x3f737871, v240
	v_fmamk_f32 v101, v112, 0xbf737871, v95
	v_sub_f32_e32 v135, v110, v109
	v_fmac_f32_e32 v95, 0x3f737871, v112
	v_add_f32_e32 v185, v185, v214
	v_fmac_f32_e32 v132, 0xbf167918, v201
	v_fmac_f32_e32 v105, 0x3f167918, v201
	;; [unrolled: 1-line block ×3, first 2 shown]
	v_add_f32_e32 v106, v106, v107
	v_fmac_f32_e32 v93, 0x3f167918, v112
	v_add_f32_e32 v200, v224, v225
	v_add_f32_e32 v203, v227, v228
	;; [unrolled: 1-line block ×5, first 2 shown]
	v_fmac_f32_e32 v133, 0x3f167918, v222
	v_fmac_f32_e32 v119, 0xbf167918, v222
	;; [unrolled: 1-line block ×11, first 2 shown]
	v_add_f32_e32 v109, v127, v135
	v_fmac_f32_e32 v95, 0x3f167918, v111
	v_fmac_f32_e32 v123, 0x3e9e377a, v249
	;; [unrolled: 1-line block ×10, first 2 shown]
	v_add_nc_u32_e32 v106, 0x400, v184
	v_fmac_f32_e32 v113, 0x3e9e377a, v249
	v_fmac_f32_e32 v114, 0x3e9e377a, v250
	;; [unrolled: 1-line block ×3, first 2 shown]
	v_add_nc_u32_e32 v107, 0x800, v184
	v_fmac_f32_e32 v133, 0x3e9e377a, v200
	v_fmac_f32_e32 v119, 0x3e9e377a, v200
	v_fmac_f32_e32 v177, 0x3e9e377a, v203
	v_fmac_f32_e32 v121, 0x3e9e377a, v203
	v_fmac_f32_e32 v134, 0x3e9e377a, v210
	v_fmac_f32_e32 v120, 0x3e9e377a, v210
	v_fmac_f32_e32 v190, 0x3e9e377a, v209
	v_fmac_f32_e32 v96, 0x3e9e377a, v209
	v_fmac_f32_e32 v88, 0x3e9e377a, v211
	v_fmac_f32_e32 v90, 0x3e9e377a, v211
	v_fmac_f32_e32 v101, 0x3e9e377a, v109
	v_fmac_f32_e32 v95, 0x3e9e377a, v109
	ds_write_b64 v180, v[192:193]
	ds_write2_b64 v184, v[123:124], v[129:130] offset0:85 offset1:102
	ds_write2_b64 v184, v[125:126], v[131:132] offset0:170 offset1:187
	;; [unrolled: 1-line block ×5, first 2 shown]
	ds_write_b64 v180, v[133:134] offset:952
	ds_write_b64 v180, v[177:178] offset:1632
	;; [unrolled: 1-line block ×14, first 2 shown]
	v_add_co_u32 v106, s0, s2, v108
	v_add_co_ci_u32_e64 v107, null, s3, 0, s0
	s_waitcnt lgkmcnt(0)
	v_add_co_u32 v104, s0, 0x800, v106
	s_barrier
	buffer_gl0_inv
	s_clause 0x4
	global_load_dwordx2 v[125:126], v108, s[2:3]
	global_load_dwordx2 v[133:134], v108, s[2:3] offset:200
	global_load_dwordx2 v[177:178], v108, s[2:3] offset:400
	;; [unrolled: 1-line block ×4, first 2 shown]
	v_add_co_ci_u32_e64 v105, s0, 0, v107, s0
	s_clause 0xb
	global_load_dwordx2 v[206:207], v108, s[2:3] offset:1000
	global_load_dwordx2 v[208:209], v108, s[2:3] offset:1200
	;; [unrolled: 1-line block ×6, first 2 shown]
	global_load_dwordx2 v[218:219], v[104:105], off offset:152
	global_load_dwordx2 v[220:221], v[104:105], off offset:352
	;; [unrolled: 1-line block ×6, first 2 shown]
	ds_read2_b64 v[108:111], v180 offset1:25
	ds_read2_b64 v[113:116], v180 offset0:50 offset1:75
	ds_read2_b64 v[117:120], v180 offset0:100 offset1:125
	v_add_nc_u32_e32 v112, 0x400, v180
	ds_read2_b64 v[121:124], v180 offset0:150 offset1:175
	ds_read2_b64 v[129:132], v180 offset0:200 offset1:225
	;; [unrolled: 1-line block ×5, first 2 shown]
	ds_read_b64 v[230:231], v180 offset:3200
	s_waitcnt vmcnt(16) lgkmcnt(8)
	v_mul_f32_e32 v179, v109, v126
	v_mul_f32_e32 v127, v108, v126
	s_waitcnt vmcnt(15)
	v_mul_f32_e32 v181, v111, v134
	v_mul_f32_e32 v135, v110, v134
	s_waitcnt vmcnt(14) lgkmcnt(7)
	v_mul_f32_e32 v183, v114, v178
	v_mul_f32_e32 v233, v113, v178
	s_waitcnt vmcnt(13)
	v_mul_f32_e32 v234, v116, v203
	v_mul_f32_e32 v178, v115, v203
	;; [unrolled: 6-line block ×8, first 2 shown]
	s_waitcnt vmcnt(0) lgkmcnt(0)
	v_mul_f32_e32 v247, v231, v229
	v_mul_f32_e32 v227, v230, v229
	v_fma_f32 v126, v108, v125, -v179
	v_fmac_f32_e32 v127, v109, v125
	v_fma_f32 v134, v110, v133, -v181
	v_fmac_f32_e32 v135, v111, v133
	;; [unrolled: 2-line block ×17, first 2 shown]
	ds_write2_b64 v180, v[126:127], v[134:135] offset1:25
	ds_write2_b64 v180, v[232:233], v[177:178] offset0:50 offset1:75
	ds_write2_b64 v180, v[202:203], v[204:205] offset0:100 offset1:125
	;; [unrolled: 1-line block ×7, first 2 shown]
	ds_write_b64 v180, v[226:227] offset:3200
	s_and_saveexec_b32 s0, vcc_lo
	s_cbranch_execz .LBB0_9
; %bb.8:
	s_clause 0xc
	global_load_dwordx2 v[108:109], v[106:107], off offset:136
	global_load_dwordx2 v[125:126], v[106:107], off offset:336
	;; [unrolled: 1-line block ×13, first 2 shown]
	v_lshl_or_b32 v106, v167, 3, 0xc40
	s_clause 0x3
	global_load_dwordx2 v[216:217], v[104:105], off offset:688
	global_load_dwordx2 v[218:219], v[104:105], off offset:888
	global_load_dwordx2 v[220:221], v106, s[2:3]
	global_load_dwordx2 v[222:223], v[104:105], off offset:1288
	ds_read_b64 v[104:105], v184 offset:136
	s_waitcnt vmcnt(16) lgkmcnt(0)
	v_mul_f32_e32 v106, v105, v109
	v_mul_f32_e32 v107, v104, v109
	v_fma_f32 v106, v104, v108, -v106
	v_fmac_f32_e32 v107, v105, v108
	ds_write_b64 v184, v[106:107] offset:136
	ds_read2_b64 v[104:107], v180 offset0:42 offset1:67
	ds_read2_b64 v[108:111], v180 offset0:92 offset1:117
	;; [unrolled: 1-line block ×8, first 2 shown]
	s_waitcnt vmcnt(15) lgkmcnt(7)
	v_mul_f32_e32 v179, v105, v126
	v_mul_f32_e32 v127, v104, v126
	s_waitcnt vmcnt(14)
	v_mul_f32_e32 v181, v107, v134
	v_mul_f32_e32 v135, v106, v134
	s_waitcnt vmcnt(13) lgkmcnt(6)
	v_mul_f32_e32 v183, v109, v178
	v_mul_f32_e32 v224, v108, v178
	s_waitcnt vmcnt(12)
	v_mul_f32_e32 v225, v111, v199
	v_mul_f32_e32 v178, v110, v199
	;; [unrolled: 6-line block ×8, first 2 shown]
	v_fma_f32 v126, v104, v125, -v179
	v_fmac_f32_e32 v127, v105, v125
	v_fma_f32 v134, v106, v133, -v181
	v_fmac_f32_e32 v135, v107, v133
	;; [unrolled: 2-line block ×16, first 2 shown]
	ds_write2_b64 v180, v[126:127], v[134:135] offset0:42 offset1:67
	ds_write2_b64 v180, v[223:224], v[177:178] offset0:92 offset1:117
	;; [unrolled: 1-line block ×8, first 2 shown]
.LBB0_9:
	s_or_b32 exec_lo, exec_lo, s0
	s_waitcnt lgkmcnt(0)
	s_barrier
	buffer_gl0_inv
	ds_read2_b64 v[132:135], v180 offset1:25
	ds_read2_b64 v[124:127], v180 offset0:50 offset1:75
	ds_read2_b64 v[116:119], v180 offset0:100 offset1:125
	;; [unrolled: 1-line block ×7, first 2 shown]
	ds_read_b64 v[177:178], v180 offset:3200
	s_and_saveexec_b32 s0, vcc_lo
	s_cbranch_execz .LBB0_11
; %bb.10:
	v_add_nc_u32_e32 v4, 0x800, v184
	ds_read2_b64 v[88:91], v184 offset0:17 offset1:42
	ds_read2_b64 v[96:99], v184 offset0:67 offset1:92
	;; [unrolled: 1-line block ×8, first 2 shown]
	ds_read_b64 v[175:176], v184 offset:3336
.LBB0_11:
	s_or_b32 exec_lo, exec_lo, s0
	s_waitcnt lgkmcnt(8)
	v_add_f32_e32 v179, v132, v134
	v_add_f32_e32 v181, v133, v135
	s_waitcnt lgkmcnt(0)
	v_sub_f32_e32 v193, v135, v178
	v_add_f32_e32 v194, v178, v135
	v_add_f32_e32 v183, v177, v134
	;; [unrolled: 1-line block ×4, first 2 shown]
	v_sub_f32_e32 v195, v134, v177
	v_mul_f32_e32 v134, 0xbeb8f4ab, v193
	v_mul_f32_e32 v196, 0xbf2c7751, v193
	v_add_f32_e32 v179, v179, v126
	v_add_f32_e32 v181, v181, v127
	v_mul_f32_e32 v197, 0x3f3d2fb0, v194
	v_fmamk_f32 v203, v183, 0x3f6eb680, v134
	v_fma_f32 v134, 0x3f6eb680, v183, -v134
	v_add_f32_e32 v135, v179, v116
	v_add_f32_e32 v179, v181, v117
	v_mul_f32_e32 v198, 0xbf65296c, v193
	v_mul_f32_e32 v199, 0x3ee437d1, v194
	v_add_f32_e32 v211, v132, v134
	v_add_f32_e32 v135, v135, v118
	v_add_f32_e32 v179, v179, v119
	v_mul_f32_e32 v200, 0xbf7ee86f, v193
	v_mul_f32_e32 v201, 0x3dbcf732, v194
	v_fmamk_f32 v205, v183, 0x3f3d2fb0, v196
	v_add_f32_e32 v135, v135, v108
	v_add_f32_e32 v179, v179, v109
	v_fmamk_f32 v206, v195, 0x3f2c7751, v197
	v_fmamk_f32 v207, v183, 0x3ee437d1, v198
	v_fmamk_f32 v208, v195, 0x3f65296c, v199
	v_add_f32_e32 v135, v135, v110
	v_add_f32_e32 v179, v179, v111
	v_fmamk_f32 v209, v183, 0x3dbcf732, v200
	v_fmamk_f32 v210, v195, 0x3f7ee86f, v201
	v_mul_f32_e32 v181, 0x3f6eb680, v194
	v_add_f32_e32 v135, v135, v104
	v_add_f32_e32 v179, v179, v105
	v_mul_f32_e32 v202, 0xbf763a35, v193
	v_mul_f32_e32 v213, 0xbf1a4643, v194
	;; [unrolled: 1-line block ×3, first 2 shown]
	v_add_f32_e32 v135, v135, v106
	v_add_f32_e32 v179, v179, v107
	v_mul_f32_e32 v217, 0xbf59a7d5, v194
	v_sub_f32_e32 v221, v125, v131
	v_add_f32_e32 v125, v131, v125
	v_add_f32_e32 v135, v135, v112
	;; [unrolled: 1-line block ×3, first 2 shown]
	v_fmamk_f32 v204, v195, 0x3eb8f4ab, v181
	v_fmac_f32_e32 v181, 0xbeb8f4ab, v195
	v_fma_f32 v196, 0x3f3d2fb0, v183, -v196
	v_add_f32_e32 v135, v135, v114
	v_add_f32_e32 v179, v179, v115
	v_fmac_f32_e32 v197, 0xbf2c7751, v195
	v_fma_f32 v198, 0x3ee437d1, v183, -v198
	v_fmac_f32_e32 v199, 0xbf65296c, v195
	v_add_f32_e32 v135, v135, v120
	v_add_f32_e32 v179, v179, v121
	v_fma_f32 v200, 0x3dbcf732, v183, -v200
	v_fmac_f32_e32 v201, 0xbf7ee86f, v195
	v_fmamk_f32 v215, v195, 0x3f4c4adb, v213
	v_add_f32_e32 v134, v135, v122
	v_add_f32_e32 v135, v179, v123
	;; [unrolled: 1-line block ×9, first 2 shown]
	v_mul_f32_e32 v209, 0xbe8c1d8e, v194
	v_add_f32_e32 v134, v134, v130
	v_add_f32_e32 v135, v135, v131
	v_mul_f32_e32 v194, 0xbf7ba420, v194
	v_fmac_f32_e32 v213, 0xbf4c4adb, v195
	v_fmamk_f32 v212, v195, 0x3f763a35, v209
	v_add_f32_e32 v134, v134, v177
	v_add_f32_e32 v135, v135, v178
	;; [unrolled: 1-line block ×3, first 2 shown]
	v_mul_f32_e32 v210, 0xbf4c4adb, v193
	v_mul_f32_e32 v193, 0xbe3c28d5, v193
	v_fmamk_f32 v177, v183, 0xbe8c1d8e, v202
	v_fma_f32 v202, 0xbe8c1d8e, v183, -v202
	v_fmac_f32_e32 v209, 0xbf763a35, v195
	v_fmamk_f32 v214, v183, 0xbf1a4643, v210
	v_fma_f32 v210, 0xbf1a4643, v183, -v210
	v_fmamk_f32 v218, v183, 0xbf59a7d5, v216
	v_fmamk_f32 v219, v195, 0x3f06c442, v217
	v_fma_f32 v216, 0xbf59a7d5, v183, -v216
	v_fmac_f32_e32 v217, 0xbf06c442, v195
	v_fmamk_f32 v220, v183, 0xbf7ba420, v193
	v_fmamk_f32 v222, v195, 0x3e3c28d5, v194
	v_fma_f32 v183, 0xbf7ba420, v183, -v193
	v_add_f32_e32 v131, v130, v124
	v_mul_f32_e32 v193, 0xbf2c7751, v221
	v_fmac_f32_e32 v194, 0xbe3c28d5, v195
	v_sub_f32_e32 v124, v124, v130
	v_mul_f32_e32 v130, 0x3f3d2fb0, v125
	v_add_f32_e32 v203, v132, v203
	v_add_f32_e32 v204, v133, v204
	;; [unrolled: 1-line block ×23, first 2 shown]
	v_fmamk_f32 v222, v131, 0x3f3d2fb0, v193
	v_add_f32_e32 v132, v132, v183
	v_add_f32_e32 v133, v133, v194
	v_fmamk_f32 v183, v124, 0x3f2c7751, v130
	v_mul_f32_e32 v194, 0xbf7ee86f, v221
	v_fmac_f32_e32 v130, 0xbf2c7751, v124
	v_add_f32_e32 v203, v222, v203
	v_fma_f32 v193, 0x3f3d2fb0, v131, -v193
	v_add_f32_e32 v183, v183, v204
	v_fmamk_f32 v204, v131, 0x3dbcf732, v194
	v_mul_f32_e32 v222, 0x3dbcf732, v125
	v_add_f32_e32 v130, v130, v181
	v_mul_f32_e32 v181, 0xbf4c4adb, v221
	v_add_f32_e32 v193, v193, v211
	v_add_f32_e32 v179, v204, v179
	v_fmamk_f32 v204, v124, 0x3f7ee86f, v222
	v_fma_f32 v194, 0x3dbcf732, v131, -v194
	v_fmac_f32_e32 v222, 0xbf7ee86f, v124
	v_fmamk_f32 v211, v131, 0xbf1a4643, v181
	v_mul_f32_e32 v223, 0xbf1a4643, v125
	v_add_f32_e32 v204, v204, v205
	v_add_f32_e32 v194, v194, v196
	;; [unrolled: 1-line block ×4, first 2 shown]
	v_fmamk_f32 v205, v124, 0x3f4c4adb, v223
	v_mul_f32_e32 v206, 0xbe3c28d5, v221
	v_fma_f32 v181, 0xbf1a4643, v131, -v181
	v_fmac_f32_e32 v223, 0xbf4c4adb, v124
	v_mul_f32_e32 v211, 0xbf7ba420, v125
	v_add_f32_e32 v205, v205, v207
	v_fmamk_f32 v207, v131, 0xbf7ba420, v206
	v_add_f32_e32 v181, v181, v198
	v_add_f32_e32 v198, v223, v199
	v_fmamk_f32 v199, v124, 0x3e3c28d5, v211
	v_mul_f32_e32 v222, 0x3f06c442, v221
	v_add_f32_e32 v207, v207, v208
	v_fma_f32 v206, 0xbf7ba420, v131, -v206
	v_fmac_f32_e32 v211, 0xbe3c28d5, v124
	v_add_f32_e32 v178, v199, v178
	v_fmamk_f32 v199, v131, 0xbf59a7d5, v222
	v_mul_f32_e32 v208, 0xbf59a7d5, v125
	v_add_f32_e32 v200, v206, v200
	v_add_f32_e32 v201, v211, v201
	v_mul_f32_e32 v206, 0x3f763a35, v221
	v_add_f32_e32 v177, v199, v177
	v_fmamk_f32 v199, v124, 0xbf06c442, v208
	v_fma_f32 v211, 0xbf59a7d5, v131, -v222
	v_mul_f32_e32 v223, 0xbe8c1d8e, v125
	v_fmac_f32_e32 v208, 0x3f06c442, v124
	v_fmamk_f32 v222, v131, 0xbe8c1d8e, v206
	v_add_f32_e32 v199, v199, v212
	v_add_f32_e32 v202, v211, v202
	v_fmamk_f32 v211, v124, 0xbf763a35, v223
	v_mul_f32_e32 v212, 0x3f65296c, v221
	v_add_f32_e32 v208, v208, v209
	v_add_f32_e32 v209, v222, v214
	v_fma_f32 v206, 0xbe8c1d8e, v131, -v206
	v_mul_f32_e32 v214, 0x3ee437d1, v125
	v_add_f32_e32 v211, v211, v215
	v_fmamk_f32 v215, v131, 0x3ee437d1, v212
	v_mul_f32_e32 v221, 0x3eb8f4ab, v221
	v_fma_f32 v212, 0x3ee437d1, v131, -v212
	v_add_f32_e32 v206, v206, v210
	v_fmamk_f32 v210, v124, 0xbf65296c, v214
	v_add_f32_e32 v215, v215, v218
	v_fmac_f32_e32 v214, 0x3f65296c, v124
	v_fmamk_f32 v218, v131, 0x3f6eb680, v221
	v_add_f32_e32 v212, v212, v216
	v_sub_f32_e32 v216, v127, v129
	v_add_f32_e32 v210, v210, v219
	v_mul_f32_e32 v125, 0x3f6eb680, v125
	v_add_f32_e32 v214, v214, v217
	v_add_f32_e32 v217, v218, v220
	;; [unrolled: 1-line block ×3, first 2 shown]
	v_mul_f32_e32 v220, 0xbf65296c, v216
	v_add_f32_e32 v127, v129, v127
	v_fmac_f32_e32 v223, 0x3f763a35, v124
	v_fmamk_f32 v218, v124, 0xbeb8f4ab, v125
	v_fma_f32 v129, 0x3f6eb680, v131, -v221
	v_fmac_f32_e32 v125, 0x3eb8f4ab, v124
	v_sub_f32_e32 v124, v126, v128
	v_fmamk_f32 v126, v219, 0x3ee437d1, v220
	v_mul_f32_e32 v128, 0x3ee437d1, v127
	v_add_f32_e32 v131, v218, v195
	v_add_f32_e32 v129, v129, v132
	;; [unrolled: 1-line block ×4, first 2 shown]
	v_fmamk_f32 v132, v124, 0x3f65296c, v128
	v_mul_f32_e32 v133, 0xbf4c4adb, v216
	v_fma_f32 v195, 0x3ee437d1, v219, -v220
	v_fmac_f32_e32 v128, 0xbf65296c, v124
	v_mul_f32_e32 v203, 0xbf1a4643, v127
	v_add_f32_e32 v132, v132, v183
	v_fmamk_f32 v183, v219, 0xbf1a4643, v133
	v_add_f32_e32 v193, v195, v193
	v_add_f32_e32 v128, v128, v130
	v_fmamk_f32 v130, v124, 0x3f4c4adb, v203
	v_mul_f32_e32 v195, 0x3e3c28d5, v216
	v_fma_f32 v133, 0xbf1a4643, v219, -v133
	v_fmac_f32_e32 v203, 0xbf4c4adb, v124
	v_add_f32_e32 v179, v183, v179
	v_add_f32_e32 v130, v130, v204
	v_fmamk_f32 v183, v219, 0xbf7ba420, v195
	v_mul_f32_e32 v204, 0xbf7ba420, v127
	v_add_f32_e32 v133, v133, v194
	v_add_f32_e32 v194, v203, v196
	v_mul_f32_e32 v196, 0x3f763a35, v216
	v_add_f32_e32 v183, v183, v197
	v_fmamk_f32 v197, v124, 0xbe3c28d5, v204
	v_fma_f32 v195, 0xbf7ba420, v219, -v195
	v_fmac_f32_e32 v204, 0x3e3c28d5, v124
	v_fmamk_f32 v203, v219, 0xbe8c1d8e, v196
	v_mul_f32_e32 v218, 0xbe8c1d8e, v127
	v_add_f32_e32 v197, v197, v205
	v_add_f32_e32 v181, v195, v181
	;; [unrolled: 1-line block ×4, first 2 shown]
	v_fmamk_f32 v203, v124, 0xbf763a35, v218
	v_mul_f32_e32 v204, 0x3f2c7751, v216
	v_fma_f32 v196, 0xbe8c1d8e, v219, -v196
	v_fmac_f32_e32 v218, 0x3f763a35, v124
	v_mul_f32_e32 v205, 0x3f3d2fb0, v127
	v_add_f32_e32 v178, v203, v178
	v_fmamk_f32 v203, v219, 0x3f3d2fb0, v204
	v_add_f32_e32 v196, v196, v200
	v_add_f32_e32 v200, v218, v201
	v_fmamk_f32 v201, v124, 0xbf2c7751, v205
	v_mul_f32_e32 v207, 0xbeb8f4ab, v216
	v_add_f32_e32 v177, v203, v177
	v_fma_f32 v203, 0x3f3d2fb0, v219, -v204
	v_fmac_f32_e32 v205, 0x3f2c7751, v124
	v_add_f32_e32 v199, v201, v199
	v_fmamk_f32 v201, v219, 0x3f6eb680, v207
	v_mul_f32_e32 v204, 0x3f6eb680, v127
	v_add_f32_e32 v202, v203, v202
	v_add_f32_e32 v203, v205, v208
	v_mul_f32_e32 v205, 0xbf7ee86f, v216
	v_add_f32_e32 v201, v201, v209
	v_fma_f32 v207, 0x3f6eb680, v219, -v207
	v_mul_f32_e32 v218, 0x3dbcf732, v127
	v_add_f32_e32 v213, v223, v213
	v_fmamk_f32 v209, v219, 0x3dbcf732, v205
	v_fmamk_f32 v208, v124, 0x3eb8f4ab, v204
	v_fmac_f32_e32 v204, 0xbeb8f4ab, v124
	v_add_f32_e32 v206, v207, v206
	v_mul_f32_e32 v127, 0xbf59a7d5, v127
	v_add_f32_e32 v207, v209, v215
	v_fmamk_f32 v209, v124, 0x3f7ee86f, v218
	v_fma_f32 v205, 0x3dbcf732, v219, -v205
	v_fmac_f32_e32 v218, 0xbf7ee86f, v124
	v_add_f32_e32 v208, v208, v211
	v_add_f32_e32 v204, v204, v213
	v_mul_f32_e32 v211, 0xbf06c442, v216
	v_fmamk_f32 v213, v124, 0x3f06c442, v127
	v_add_f32_e32 v205, v205, v212
	v_add_f32_e32 v212, v218, v214
	v_sub_f32_e32 v214, v117, v123
	v_add_f32_e32 v117, v123, v117
	v_add_f32_e32 v209, v209, v210
	v_fmamk_f32 v210, v219, 0xbf59a7d5, v211
	v_add_f32_e32 v131, v213, v131
	v_add_f32_e32 v213, v122, v116
	v_mul_f32_e32 v123, 0xbf7ee86f, v214
	v_fma_f32 v211, 0xbf59a7d5, v219, -v211
	v_fmac_f32_e32 v127, 0xbf06c442, v124
	v_sub_f32_e32 v116, v116, v122
	v_mul_f32_e32 v122, 0x3dbcf732, v117
	v_fmamk_f32 v124, v213, 0x3dbcf732, v123
	v_add_f32_e32 v129, v211, v129
	v_add_f32_e32 v125, v127, v125
	v_mul_f32_e32 v127, 0xbe3c28d5, v214
	v_fmamk_f32 v211, v116, 0x3f7ee86f, v122
	v_add_f32_e32 v124, v124, v126
	v_fma_f32 v123, 0x3dbcf732, v213, -v123
	v_fmac_f32_e32 v122, 0xbf7ee86f, v116
	v_fmamk_f32 v126, v213, 0xbf7ba420, v127
	v_add_f32_e32 v132, v211, v132
	v_mul_f32_e32 v211, 0xbf7ba420, v117
	v_add_f32_e32 v123, v123, v193
	v_mul_f32_e32 v193, 0xbe8c1d8e, v117
	v_add_f32_e32 v126, v126, v179
	v_add_f32_e32 v122, v122, v128
	v_fmamk_f32 v179, v116, 0x3e3c28d5, v211
	v_mul_f32_e32 v128, 0x3f763a35, v214
	v_fma_f32 v127, 0xbf7ba420, v213, -v127
	v_fmac_f32_e32 v211, 0xbe3c28d5, v116
	v_add_f32_e32 v210, v210, v217
	v_add_f32_e32 v130, v179, v130
	v_fmamk_f32 v179, v116, 0xbf763a35, v193
	v_fmamk_f32 v215, v213, 0xbe8c1d8e, v128
	v_add_f32_e32 v127, v127, v133
	v_add_f32_e32 v133, v211, v194
	v_mul_f32_e32 v194, 0x3eb8f4ab, v214
	v_fma_f32 v128, 0xbe8c1d8e, v213, -v128
	v_fmac_f32_e32 v193, 0x3f763a35, v116
	v_add_f32_e32 v179, v179, v197
	v_mul_f32_e32 v197, 0x3f6eb680, v117
	v_fmamk_f32 v211, v213, 0x3f6eb680, v194
	v_add_f32_e32 v128, v128, v181
	v_add_f32_e32 v181, v193, v195
	v_mul_f32_e32 v193, 0xbf65296c, v214
	v_fmamk_f32 v195, v116, 0xbeb8f4ab, v197
	v_add_f32_e32 v198, v211, v198
	v_fma_f32 v194, 0x3f6eb680, v213, -v194
	v_fmac_f32_e32 v197, 0x3eb8f4ab, v116
	v_fmamk_f32 v211, v213, 0x3ee437d1, v193
	v_add_f32_e32 v178, v195, v178
	v_mul_f32_e32 v195, 0x3ee437d1, v117
	v_add_f32_e32 v194, v194, v196
	v_add_f32_e32 v196, v197, v200
	;; [unrolled: 1-line block ×3, first 2 shown]
	v_mul_f32_e32 v197, 0xbf06c442, v214
	v_fmamk_f32 v200, v116, 0x3f65296c, v195
	v_fma_f32 v193, 0x3ee437d1, v213, -v193
	v_mul_f32_e32 v211, 0xbf59a7d5, v117
	v_add_f32_e32 v183, v215, v183
	v_fmamk_f32 v215, v213, 0xbf59a7d5, v197
	v_add_f32_e32 v199, v200, v199
	v_add_f32_e32 v193, v193, v202
	v_fmamk_f32 v200, v116, 0x3f06c442, v211
	v_mul_f32_e32 v202, 0x3f4c4adb, v214
	v_fma_f32 v197, 0xbf59a7d5, v213, -v197
	v_fmac_f32_e32 v195, 0xbf65296c, v116
	v_fmac_f32_e32 v211, 0xbf06c442, v116
	v_add_f32_e32 v200, v200, v208
	v_fmamk_f32 v208, v213, 0xbf1a4643, v202
	v_add_f32_e32 v197, v197, v206
	v_mul_f32_e32 v206, 0x3f2c7751, v214
	v_add_f32_e32 v195, v195, v203
	v_mul_f32_e32 v203, 0xbf1a4643, v117
	v_add_f32_e32 v207, v208, v207
	v_fma_f32 v202, 0xbf1a4643, v213, -v202
	v_fmamk_f32 v208, v213, 0x3f3d2fb0, v206
	v_add_f32_e32 v204, v211, v204
	v_fmamk_f32 v211, v116, 0xbf4c4adb, v203
	v_mul_f32_e32 v117, 0x3f3d2fb0, v117
	v_add_f32_e32 v202, v202, v205
	v_add_f32_e32 v205, v208, v210
	v_sub_f32_e32 v208, v119, v121
	v_add_f32_e32 v119, v121, v119
	v_fmac_f32_e32 v203, 0x3f4c4adb, v116
	v_add_f32_e32 v209, v211, v209
	v_fmamk_f32 v210, v116, 0xbf2c7751, v117
	v_fma_f32 v206, 0x3f3d2fb0, v213, -v206
	v_add_f32_e32 v121, v120, v118
	v_mul_f32_e32 v211, 0xbf763a35, v208
	v_fmac_f32_e32 v117, 0x3f2c7751, v116
	v_sub_f32_e32 v116, v118, v120
	v_mul_f32_e32 v118, 0xbe8c1d8e, v119
	v_add_f32_e32 v120, v210, v131
	v_fmamk_f32 v131, v121, 0xbe8c1d8e, v211
	v_add_f32_e32 v129, v206, v129
	v_add_f32_e32 v117, v117, v125
	v_fmamk_f32 v125, v116, 0x3f763a35, v118
	v_mul_f32_e32 v206, 0x3f06c442, v208
	v_fmac_f32_e32 v118, 0xbf763a35, v116
	v_add_f32_e32 v124, v131, v124
	v_fma_f32 v131, 0xbe8c1d8e, v121, -v211
	v_add_f32_e32 v125, v125, v132
	v_fmamk_f32 v132, v121, 0xbf59a7d5, v206
	v_mul_f32_e32 v210, 0xbf59a7d5, v119
	v_add_f32_e32 v118, v118, v122
	v_mul_f32_e32 v122, 0x3f2c7751, v208
	v_add_f32_e32 v123, v131, v123
	v_add_f32_e32 v126, v132, v126
	v_fmamk_f32 v131, v116, 0xbf06c442, v210
	v_fma_f32 v132, 0xbf59a7d5, v121, -v206
	v_fmac_f32_e32 v210, 0x3f06c442, v116
	v_fmamk_f32 v206, v121, 0x3f3d2fb0, v122
	v_mul_f32_e32 v211, 0x3f3d2fb0, v119
	v_add_f32_e32 v130, v131, v130
	v_add_f32_e32 v127, v132, v127
	v_add_f32_e32 v131, v210, v133
	v_add_f32_e32 v132, v206, v183
	v_fmamk_f32 v133, v116, 0xbf2c7751, v211
	v_mul_f32_e32 v183, 0xbf65296c, v208
	v_fma_f32 v122, 0x3f3d2fb0, v121, -v122
	v_fmac_f32_e32 v211, 0x3f2c7751, v116
	v_mul_f32_e32 v206, 0x3ee437d1, v119
	v_add_f32_e32 v133, v133, v179
	v_fmamk_f32 v179, v121, 0x3ee437d1, v183
	v_add_f32_e32 v122, v122, v128
	v_add_f32_e32 v128, v211, v181
	v_fmamk_f32 v181, v116, 0x3f65296c, v206
	v_mul_f32_e32 v210, 0xbe3c28d5, v208
	v_fma_f32 v183, 0x3ee437d1, v121, -v183
	v_fmac_f32_e32 v206, 0xbf65296c, v116
	v_add_f32_e32 v179, v179, v198
	v_add_f32_e32 v178, v181, v178
	v_fmamk_f32 v181, v121, 0xbf7ba420, v210
	v_mul_f32_e32 v198, 0xbf7ba420, v119
	v_add_f32_e32 v183, v183, v194
	v_add_f32_e32 v194, v206, v196
	v_mul_f32_e32 v196, 0x3f7ee86f, v208
	v_add_f32_e32 v201, v215, v201
	v_add_f32_e32 v177, v181, v177
	v_fmamk_f32 v181, v116, 0x3e3c28d5, v198
	v_fma_f32 v206, 0xbf7ba420, v121, -v210
	v_fmac_f32_e32 v198, 0xbe3c28d5, v116
	v_fmamk_f32 v210, v121, 0x3dbcf732, v196
	v_mul_f32_e32 v211, 0x3dbcf732, v119
	v_add_f32_e32 v181, v181, v199
	v_add_f32_e32 v193, v206, v193
	;; [unrolled: 1-line block ×4, first 2 shown]
	v_fmamk_f32 v199, v116, 0xbf7ee86f, v211
	v_mul_f32_e32 v201, 0xbeb8f4ab, v208
	v_fma_f32 v196, 0x3dbcf732, v121, -v196
	v_mul_f32_e32 v206, 0x3f6eb680, v119
	v_mul_f32_e32 v208, 0xbf4c4adb, v208
	v_add_f32_e32 v199, v199, v200
	v_fmamk_f32 v200, v121, 0x3f6eb680, v201
	v_fma_f32 v201, 0x3f6eb680, v121, -v201
	v_add_f32_e32 v196, v196, v197
	v_fmamk_f32 v197, v116, 0x3eb8f4ab, v206
	v_add_f32_e32 v203, v203, v212
	v_add_f32_e32 v200, v200, v207
	v_fmamk_f32 v207, v121, 0xbf1a4643, v208
	v_add_f32_e32 v201, v201, v202
	v_sub_f32_e32 v202, v109, v115
	v_add_f32_e32 v197, v197, v209
	v_fmac_f32_e32 v206, 0xbeb8f4ab, v116
	v_mul_f32_e32 v119, 0xbf1a4643, v119
	v_add_f32_e32 v205, v207, v205
	v_add_f32_e32 v207, v114, v108
	v_mul_f32_e32 v209, 0xbf4c4adb, v202
	v_add_f32_e32 v109, v115, v109
	v_fmac_f32_e32 v211, 0x3f7ee86f, v116
	v_add_f32_e32 v203, v206, v203
	v_fmamk_f32 v206, v116, 0x3f4c4adb, v119
	v_fma_f32 v115, 0xbf1a4643, v121, -v208
	v_fmac_f32_e32 v119, 0xbf4c4adb, v116
	v_sub_f32_e32 v108, v108, v114
	v_fmamk_f32 v114, v207, 0xbf1a4643, v209
	v_mul_f32_e32 v116, 0xbf1a4643, v109
	v_add_f32_e32 v115, v115, v129
	v_add_f32_e32 v117, v119, v117
	v_mul_f32_e32 v121, 0x3f763a35, v202
	v_add_f32_e32 v114, v114, v124
	v_fmamk_f32 v119, v108, 0x3f4c4adb, v116
	v_fma_f32 v124, 0xbf1a4643, v207, -v209
	v_fmac_f32_e32 v116, 0xbf4c4adb, v108
	v_mul_f32_e32 v129, 0xbe8c1d8e, v109
	v_add_f32_e32 v120, v206, v120
	v_add_f32_e32 v119, v119, v125
	v_fmamk_f32 v125, v207, 0xbe8c1d8e, v121
	v_add_f32_e32 v123, v124, v123
	v_add_f32_e32 v116, v116, v118
	v_fmamk_f32 v118, v108, 0xbf763a35, v129
	v_mul_f32_e32 v124, 0xbeb8f4ab, v202
	v_fma_f32 v121, 0xbe8c1d8e, v207, -v121
	v_fmac_f32_e32 v129, 0x3f763a35, v108
	v_add_f32_e32 v125, v125, v126
	v_add_f32_e32 v118, v118, v130
	v_fmamk_f32 v126, v207, 0x3f6eb680, v124
	v_mul_f32_e32 v130, 0x3f6eb680, v109
	v_add_f32_e32 v121, v121, v127
	v_add_f32_e32 v127, v129, v131
	v_mul_f32_e32 v129, 0xbf06c442, v202
	v_add_f32_e32 v126, v126, v132
	v_fmamk_f32 v131, v108, 0x3eb8f4ab, v130
	v_fma_f32 v124, 0x3f6eb680, v207, -v124
	v_fmac_f32_e32 v130, 0xbeb8f4ab, v108
	v_fmamk_f32 v132, v207, 0xbf59a7d5, v129
	v_mul_f32_e32 v206, 0xbf59a7d5, v109
	v_add_f32_e32 v131, v131, v133
	v_add_f32_e32 v122, v124, v122
	;; [unrolled: 1-line block ×4, first 2 shown]
	v_fmamk_f32 v130, v108, 0x3f06c442, v206
	v_mul_f32_e32 v132, 0x3f7ee86f, v202
	v_fma_f32 v129, 0xbf59a7d5, v207, -v129
	v_fmac_f32_e32 v206, 0xbf06c442, v108
	v_mul_f32_e32 v133, 0x3dbcf732, v109
	v_add_f32_e32 v130, v130, v178
	v_fmamk_f32 v178, v207, 0x3dbcf732, v132
	v_add_f32_e32 v129, v129, v183
	v_add_f32_e32 v179, v206, v194
	v_fmamk_f32 v183, v108, 0xbf7ee86f, v133
	v_mul_f32_e32 v194, 0xbf2c7751, v202
	v_fma_f32 v132, 0x3dbcf732, v207, -v132
	v_add_f32_e32 v177, v178, v177
	v_fmac_f32_e32 v133, 0x3f7ee86f, v108
	v_add_f32_e32 v178, v183, v181
	v_fmamk_f32 v181, v207, 0x3f3d2fb0, v194
	v_mul_f32_e32 v183, 0x3f3d2fb0, v109
	v_add_f32_e32 v132, v132, v193
	v_mul_f32_e32 v193, 0xbe3c28d5, v202
	v_add_f32_e32 v133, v133, v195
	v_add_f32_e32 v181, v181, v198
	v_fmamk_f32 v195, v108, 0x3f2c7751, v183
	v_fma_f32 v194, 0x3f3d2fb0, v207, -v194
	v_fmamk_f32 v198, v207, 0xbf7ba420, v193
	v_mul_f32_e32 v206, 0xbf7ba420, v109
	v_mul_f32_e32 v109, 0x3ee437d1, v109
	v_add_f32_e32 v195, v195, v199
	v_add_f32_e32 v194, v194, v196
	;; [unrolled: 1-line block ×3, first 2 shown]
	v_fmamk_f32 v198, v108, 0x3e3c28d5, v206
	v_mul_f32_e32 v199, 0x3f65296c, v202
	v_fmamk_f32 v200, v108, 0xbf65296c, v109
	v_sub_f32_e32 v202, v111, v113
	v_add_f32_e32 v111, v113, v111
	v_fmac_f32_e32 v183, 0xbf2c7751, v108
	v_fmac_f32_e32 v206, 0xbe3c28d5, v108
	v_add_f32_e32 v197, v198, v197
	v_fmamk_f32 v198, v207, 0x3ee437d1, v199
	v_add_f32_e32 v120, v200, v120
	v_add_f32_e32 v200, v112, v110
	v_mul_f32_e32 v113, 0xbf06c442, v202
	v_fma_f32 v199, 0x3ee437d1, v207, -v199
	v_fmac_f32_e32 v109, 0x3f65296c, v108
	v_sub_f32_e32 v108, v110, v112
	v_mul_f32_e32 v110, 0xbf59a7d5, v111
	v_fmamk_f32 v112, v200, 0xbf59a7d5, v113
	v_add_f32_e32 v115, v199, v115
	v_add_f32_e32 v109, v109, v117
	v_mul_f32_e32 v117, 0x3f65296c, v202
	v_fmamk_f32 v199, v108, 0x3f06c442, v110
	v_add_f32_e32 v112, v112, v114
	v_fma_f32 v113, 0xbf59a7d5, v200, -v113
	v_fmac_f32_e32 v110, 0xbf06c442, v108
	v_fmamk_f32 v114, v200, 0x3ee437d1, v117
	v_add_f32_e32 v119, v199, v119
	v_mul_f32_e32 v199, 0x3ee437d1, v111
	v_add_f32_e32 v113, v113, v123
	v_fma_f32 v193, 0xbf7ba420, v207, -v193
	v_add_f32_e32 v114, v114, v125
	v_mul_f32_e32 v125, 0x3dbcf732, v111
	v_fmamk_f32 v123, v108, 0xbf65296c, v199
	v_add_f32_e32 v110, v110, v116
	v_mul_f32_e32 v116, 0xbf7ee86f, v202
	v_fma_f32 v117, 0x3ee437d1, v200, -v117
	v_fmac_f32_e32 v199, 0x3f65296c, v108
	v_add_f32_e32 v118, v123, v118
	v_fmamk_f32 v123, v108, 0x3f7ee86f, v125
	v_add_f32_e32 v193, v193, v201
	v_add_f32_e32 v201, v206, v203
	v_fmamk_f32 v203, v200, 0x3dbcf732, v116
	v_add_f32_e32 v117, v117, v121
	v_add_f32_e32 v121, v199, v127
	v_mul_f32_e32 v127, 0x3f4c4adb, v202
	v_fma_f32 v116, 0x3dbcf732, v200, -v116
	v_fmac_f32_e32 v125, 0xbf7ee86f, v108
	v_add_f32_e32 v123, v123, v131
	v_mul_f32_e32 v131, 0xbf1a4643, v111
	v_fmamk_f32 v199, v200, 0xbf1a4643, v127
	v_add_f32_e32 v116, v116, v122
	v_add_f32_e32 v122, v125, v124
	v_mul_f32_e32 v124, 0xbeb8f4ab, v202
	v_fmamk_f32 v125, v108, 0xbf4c4adb, v131
	v_add_f32_e32 v128, v199, v128
	v_fma_f32 v127, 0xbf1a4643, v200, -v127
	v_fmac_f32_e32 v131, 0x3f4c4adb, v108
	v_fmamk_f32 v199, v200, 0x3f6eb680, v124
	v_add_f32_e32 v125, v125, v130
	v_mul_f32_e32 v130, 0x3f6eb680, v111
	v_add_f32_e32 v127, v127, v129
	v_add_f32_e32 v129, v131, v179
	;; [unrolled: 1-line block ×3, first 2 shown]
	v_mul_f32_e32 v177, 0xbe3c28d5, v202
	v_fmamk_f32 v179, v108, 0x3eb8f4ab, v130
	v_fma_f32 v124, 0x3f6eb680, v200, -v124
	v_mul_f32_e32 v199, 0xbf7ba420, v111
	v_add_f32_e32 v204, v211, v204
	v_add_f32_e32 v126, v203, v126
	v_fmac_f32_e32 v130, 0xbeb8f4ab, v108
	v_fmamk_f32 v203, v200, 0xbf7ba420, v177
	v_add_f32_e32 v178, v179, v178
	v_add_f32_e32 v124, v124, v132
	v_fmamk_f32 v132, v108, 0x3e3c28d5, v199
	v_mul_f32_e32 v179, 0x3f2c7751, v202
	v_fma_f32 v177, 0xbf7ba420, v200, -v177
	v_add_f32_e32 v183, v183, v204
	v_add_f32_e32 v130, v130, v133
	;; [unrolled: 1-line block ×3, first 2 shown]
	v_fmac_f32_e32 v199, 0xbe3c28d5, v108
	v_add_f32_e32 v132, v132, v195
	v_mul_f32_e32 v181, 0x3f3d2fb0, v111
	v_fmamk_f32 v195, v200, 0x3f3d2fb0, v179
	v_add_f32_e32 v177, v177, v194
	v_mul_f32_e32 v194, 0xbf763a35, v202
	v_add_f32_e32 v198, v198, v205
	v_add_f32_e32 v183, v199, v183
	v_fmamk_f32 v199, v108, 0xbf2c7751, v181
	v_add_f32_e32 v195, v195, v196
	v_fma_f32 v179, 0x3f3d2fb0, v200, -v179
	v_fmamk_f32 v196, v200, 0xbe8c1d8e, v194
	v_fmac_f32_e32 v181, 0x3f2c7751, v108
	v_add_f32_e32 v197, v199, v197
	v_mul_f32_e32 v111, 0xbe8c1d8e, v111
	v_add_f32_e32 v179, v179, v193
	v_add_f32_e32 v193, v196, v198
	v_sub_f32_e32 v196, v105, v107
	v_add_f32_e32 v199, v107, v105
	v_add_f32_e32 v181, v181, v201
	v_fmamk_f32 v198, v108, 0x3f763a35, v111
	v_fma_f32 v194, 0xbe8c1d8e, v200, -v194
	v_add_f32_e32 v200, v106, v104
	v_mul_f32_e32 v105, 0xbe3c28d5, v196
	v_fmac_f32_e32 v111, 0xbf763a35, v108
	v_sub_f32_e32 v201, v104, v106
	v_mul_f32_e32 v107, 0xbf7ba420, v199
	v_add_f32_e32 v194, v194, v115
	v_fmamk_f32 v104, v200, 0xbf7ba420, v105
	v_add_f32_e32 v202, v111, v109
	v_mul_f32_e32 v109, 0x3eb8f4ab, v196
	v_fmamk_f32 v106, v201, 0x3e3c28d5, v107
	v_fma_f32 v108, 0xbf7ba420, v200, -v105
	v_add_f32_e32 v104, v104, v112
	v_fmac_f32_e32 v107, 0xbe3c28d5, v201
	v_fmamk_f32 v111, v200, 0x3f6eb680, v109
	v_add_f32_e32 v105, v106, v119
	v_mul_f32_e32 v112, 0x3f6eb680, v199
	v_add_f32_e32 v106, v108, v113
	v_mul_f32_e32 v113, 0xbf06c442, v196
	v_add_f32_e32 v107, v107, v110
	v_add_f32_e32 v108, v111, v114
	v_fmamk_f32 v110, v201, 0xbeb8f4ab, v112
	v_fma_f32 v111, 0x3f6eb680, v200, -v109
	v_fmac_f32_e32 v112, 0x3eb8f4ab, v201
	v_fmamk_f32 v114, v200, 0xbf59a7d5, v113
	v_mul_f32_e32 v115, 0xbf59a7d5, v199
	v_add_f32_e32 v109, v110, v118
	v_add_f32_e32 v110, v111, v117
	;; [unrolled: 1-line block ×4, first 2 shown]
	v_fmamk_f32 v114, v201, 0x3f06c442, v115
	v_mul_f32_e32 v117, 0x3f2c7751, v196
	v_fma_f32 v118, 0xbf59a7d5, v200, -v113
	v_mul_f32_e32 v119, 0x3f3d2fb0, v199
	v_add_f32_e32 v198, v198, v120
	v_fmac_f32_e32 v115, 0xbf06c442, v201
	v_add_f32_e32 v113, v114, v123
	v_fmamk_f32 v120, v200, 0x3f3d2fb0, v117
	v_add_f32_e32 v114, v118, v116
	v_fmamk_f32 v118, v201, 0xbf2c7751, v119
	v_mul_f32_e32 v121, 0xbf4c4adb, v196
	v_add_f32_e32 v115, v115, v122
	v_add_f32_e32 v116, v120, v128
	v_fma_f32 v120, 0x3f3d2fb0, v200, -v117
	v_add_f32_e32 v117, v118, v125
	v_fmamk_f32 v122, v200, 0xbf1a4643, v121
	v_mul_f32_e32 v123, 0xbf1a4643, v199
	v_mul_f32_e32 v125, 0x3f65296c, v196
	v_fmac_f32_e32 v119, 0x3f2c7751, v201
	v_add_f32_e32 v118, v120, v127
	v_add_f32_e32 v120, v122, v131
	v_fmamk_f32 v122, v201, 0x3f4c4adb, v123
	v_fma_f32 v126, 0xbf1a4643, v200, -v121
	v_fmamk_f32 v127, v200, 0x3ee437d1, v125
	v_mul_f32_e32 v128, 0x3ee437d1, v199
	v_add_f32_e32 v119, v119, v129
	v_fmac_f32_e32 v123, 0xbf4c4adb, v201
	v_add_f32_e32 v121, v122, v178
	v_add_f32_e32 v122, v126, v124
	;; [unrolled: 1-line block ×3, first 2 shown]
	v_fmamk_f32 v126, v201, 0xbf65296c, v128
	v_mul_f32_e32 v129, 0xbf763a35, v196
	v_fma_f32 v127, 0x3ee437d1, v200, -v125
	v_mul_f32_e32 v131, 0xbe8c1d8e, v199
	v_add_f32_e32 v123, v123, v130
	v_fmac_f32_e32 v128, 0x3f65296c, v201
	v_add_f32_e32 v125, v126, v132
	v_fmamk_f32 v130, v200, 0xbe8c1d8e, v129
	v_add_f32_e32 v126, v127, v177
	v_fmamk_f32 v132, v201, 0x3f763a35, v131
	v_fma_f32 v133, 0xbe8c1d8e, v200, -v129
	v_mul_f32_e32 v177, 0x3f7ee86f, v196
	v_mul_f32_e32 v178, 0x3dbcf732, v199
	v_add_f32_e32 v127, v128, v183
	v_add_f32_e32 v128, v130, v195
	;; [unrolled: 1-line block ×4, first 2 shown]
	v_fmamk_f32 v132, v200, 0x3dbcf732, v177
	v_fmamk_f32 v133, v201, 0xbf7ee86f, v178
	v_fma_f32 v177, 0x3dbcf732, v200, -v177
	v_fmac_f32_e32 v178, 0x3f7ee86f, v201
	v_add_nc_u32_e32 v191, 0x110, v180
	v_add_nc_u32_e32 v185, 0x198, v180
	;; [unrolled: 1-line block ×3, first 2 shown]
	v_fmac_f32_e32 v131, 0xbf763a35, v201
	v_add_f32_e32 v132, v132, v193
	v_add_f32_e32 v133, v133, v198
	;; [unrolled: 1-line block ×5, first 2 shown]
	s_barrier
	buffer_gl0_inv
	ds_write2_b64 v189, v[134:135], v[104:105] offset1:1
	ds_write2_b64 v189, v[108:109], v[112:113] offset0:2 offset1:3
	ds_write2_b64 v189, v[116:117], v[120:121] offset0:4 offset1:5
	;; [unrolled: 1-line block ×7, first 2 shown]
	ds_write_b64 v189, v[106:107] offset:128
	s_and_saveexec_b32 s0, vcc_lo
	s_cbranch_execz .LBB0_13
; %bb.12:
	v_add_f32_e32 v104, v91, v89
	v_add_f32_e32 v105, v90, v88
	;; [unrolled: 1-line block ×3, first 2 shown]
	v_sub_f32_e32 v111, v97, v7
	v_sub_f32_e32 v106, v98, v4
	v_add_f32_e32 v104, v97, v104
	v_add_f32_e32 v105, v96, v105
	;; [unrolled: 1-line block ×3, first 2 shown]
	v_sub_f32_e32 v107, v96, v6
	v_add_f32_e32 v113, v39, v93
	v_add_f32_e32 v104, v99, v104
	;; [unrolled: 1-line block ×5, first 2 shown]
	v_sub_f32_e32 v105, v100, v10
	v_add_f32_e32 v114, v101, v104
	v_add_f32_e32 v108, v100, v108
	v_sub_f32_e32 v104, v92, v38
	v_sub_f32_e32 v101, v101, v11
	;; [unrolled: 1-line block ×3, first 2 shown]
	v_add_f32_e32 v97, v103, v114
	v_add_f32_e32 v114, v102, v108
	;; [unrolled: 1-line block ×3, first 2 shown]
	v_sub_f32_e32 v96, v94, v36
	v_add_f32_e32 v109, v5, v99
	v_add_f32_e32 v116, v93, v97
	;; [unrolled: 1-line block ×4, first 2 shown]
	v_sub_f32_e32 v114, v93, v39
	v_add_f32_e32 v93, v38, v92
	v_add_f32_e32 v98, v95, v116
	;; [unrolled: 1-line block ×3, first 2 shown]
	v_sub_f32_e32 v116, v95, v37
	v_add_f32_e32 v92, v36, v94
	v_sub_f32_e32 v99, v99, v5
	v_add_f32_e32 v95, v1, v98
	v_add_f32_e32 v98, v0, v117
	v_sub_f32_e32 v94, v102, v8
	v_add_f32_e32 v117, v9, v103
	v_add_f32_e32 v90, v175, v90
	;; [unrolled: 1-line block ×6, first 2 shown]
	v_sub_f32_e32 v100, v103, v9
	v_add_f32_e32 v120, v37, v120
	v_add_f32_e32 v36, v36, v121
	v_mul_f32_e32 v37, 0xbf7ba420, v119
	v_mul_f32_e32 v103, 0xbf59a7d5, v119
	;; [unrolled: 1-line block ×3, first 2 shown]
	v_add_f32_e32 v39, v39, v120
	v_add_f32_e32 v120, v38, v36
	v_mul_f32_e32 v38, 0xbe8c1d8e, v119
	v_mul_f32_e32 v121, 0x3dbcf732, v119
	;; [unrolled: 1-line block ×3, first 2 shown]
	v_add_f32_e32 v39, v9, v39
	v_add_f32_e32 v120, v8, v120
	v_mul_f32_e32 v8, 0x3f3d2fb0, v119
	v_mul_f32_e32 v9, 0x3f6eb680, v119
	v_fmamk_f32 v119, v118, 0x3e3c28d5, v37
	v_add_f32_e32 v11, v11, v39
	v_add_f32_e32 v10, v10, v120
	v_fmac_f32_e32 v37, 0xbe3c28d5, v118
	v_fmamk_f32 v39, v118, 0x3f06c442, v103
	v_fmac_f32_e32 v103, 0xbf06c442, v118
	v_add_f32_e32 v5, v5, v11
	v_add_f32_e32 v4, v4, v10
	v_fmamk_f32 v120, v118, 0x3f4c4adb, v102
	v_fmac_f32_e32 v102, 0xbf4c4adb, v118
	v_fmamk_f32 v122, v118, 0x3f763a35, v38
	v_add_f32_e32 v5, v7, v5
	v_add_f32_e32 v4, v6, v4
	v_sub_f32_e32 v6, v91, v176
	v_fmamk_f32 v7, v118, 0x3f2c7751, v8
	v_fmac_f32_e32 v38, 0xbf763a35, v118
	v_fmamk_f32 v10, v118, 0x3f7ee86f, v121
	v_fmac_f32_e32 v121, 0xbf7ee86f, v118
	v_mul_f32_e32 v123, 0xbf06c442, v6
	v_add_f32_e32 v179, v89, v7
	v_add_f32_e32 v7, v89, v37
	v_mul_f32_e32 v124, 0xbf4c4adb, v6
	v_mul_f32_e32 v125, 0xbf763a35, v6
	v_fmamk_f32 v130, v90, 0xbf59a7d5, v123
	v_fma_f32 v123, 0xbf59a7d5, v90, -v123
	buffer_store_dword v7, off, s[20:23], 0 offset:136 ; 4-byte Folded Spill
	v_add_f32_e32 v7, v89, v103
	v_fmamk_f32 v131, v90, 0xbf1a4643, v124
	v_fma_f32 v124, 0xbf1a4643, v90, -v124
	v_fmamk_f32 v132, v90, 0xbe8c1d8e, v125
	v_fma_f32 v125, 0xbe8c1d8e, v90, -v125
	buffer_store_dword v7, off, s[20:23], 0 offset:132 ; 4-byte Folded Spill
	v_add_f32_e32 v7, v88, v123
	v_mul_f32_e32 v126, 0xbf7ee86f, v6
	v_fmamk_f32 v11, v118, 0x3f65296c, v36
	v_fmac_f32_e32 v36, 0xbf65296c, v118
	v_mul_f32_e32 v127, 0xbf65296c, v6
	buffer_store_dword v7, off, s[20:23], 0 offset:128 ; 4-byte Folded Spill
	v_add_f32_e32 v7, v89, v102
	v_fmamk_f32 v133, v90, 0x3dbcf732, v126
	v_fma_f32 v126, 0x3dbcf732, v90, -v126
	v_fmamk_f32 v134, v90, 0x3ee437d1, v127
	v_fma_f32 v127, 0x3ee437d1, v90, -v127
	buffer_store_dword v7, off, s[20:23], 0 offset:124 ; 4-byte Folded Spill
	v_add_f32_e32 v7, v88, v124
	v_mul_f32_e32 v128, 0xbf2c7751, v6
	v_fmac_f32_e32 v8, 0xbf2c7751, v118
	v_fmamk_f32 v91, v118, 0x3eb8f4ab, v9
	v_fmac_f32_e32 v9, 0xbeb8f4ab, v118
	buffer_store_dword v7, off, s[20:23], 0 offset:120 ; 4-byte Folded Spill
	v_add_f32_e32 v7, v89, v38
	v_mul_f32_e32 v118, 0xbe3c28d5, v6
	v_mul_f32_e32 v6, 0xbeb8f4ab, v6
	v_fmamk_f32 v135, v90, 0x3f3d2fb0, v128
	v_fma_f32 v128, 0x3f3d2fb0, v90, -v128
	buffer_store_dword v7, off, s[20:23], 0 offset:116 ; 4-byte Folded Spill
	v_add_f32_e32 v7, v88, v125
	v_mul_f32_e32 v195, 0x3f6eb680, v110
	v_fmamk_f32 v177, v90, 0x3f6eb680, v6
	v_fma_f32 v6, 0x3f6eb680, v90, -v6
	v_fmamk_f32 v129, v90, 0xbf7ba420, v118
	buffer_store_dword v7, off, s[20:23], 0 offset:112 ; 4-byte Folded Spill
	v_add_f32_e32 v7, v89, v121
	v_fma_f32 v118, 0xbf7ba420, v90, -v118
	v_add_f32_e32 v90, v89, v119
	v_mul_f32_e32 v197, 0xbf59a7d5, v109
	v_add_f32_e32 v6, v88, v6
	buffer_store_dword v7, off, s[20:23], 0 offset:104 ; 4-byte Folded Spill
	v_add_f32_e32 v7, v88, v126
	v_mul_f32_e32 v199, 0xbf1a4643, v117
	v_fmamk_f32 v37, v106, 0x3f06c442, v197
	buffer_store_dword v6, off, s[20:23], 0 offset:76 ; 4-byte Folded Spill
	v_add_f32_e32 v6, v2, v0
	buffer_store_dword v7, off, s[20:23], 0 offset:108 ; 4-byte Folded Spill
	v_add_f32_e32 v7, v89, v36
	v_add_f32_e32 v119, v88, v129
	;; [unrolled: 1-line block ×4, first 2 shown]
	v_sub_f32_e32 v200, v1, v3
	buffer_store_dword v7, off, s[20:23], 0 offset:100 ; 4-byte Folded Spill
	v_add_f32_e32 v7, v88, v127
	v_add_f32_e32 v1, v176, v5
	v_fmamk_f32 v3, v94, 0x3f4c4adb, v199
	v_mul_f32_e32 v176, 0x3ee437d1, v113
	v_mul_f32_e32 v11, 0xbf06c442, v99
	buffer_store_dword v7, off, s[20:23], 0 offset:96 ; 4-byte Folded Spill
	v_add_f32_e32 v7, v89, v8
	v_add_f32_e32 v8, v88, v128
	v_mul_f32_e32 v128, 0x3f3d2fb0, v112
	v_mul_f32_e32 v203, 0xbf4c4adb, v100
	;; [unrolled: 1-line block ×3, first 2 shown]
	buffer_store_dword v7, off, s[20:23], 0 offset:88 ; 4-byte Folded Spill
	v_fmamk_f32 v7, v107, 0xbeb8f4ab, v195
	buffer_store_dword v8, off, s[20:23], 0 offset:84 ; 4-byte Folded Spill
	v_add_f32_e32 v8, v89, v9
	v_mul_f32_e32 v205, 0xbf763a35, v116
	v_mul_f32_e32 v206, 0x3dbcf732, v198
	v_add_f32_e32 v36, v7, v90
	v_sub_f32_e32 v7, v0, v2
	buffer_store_dword v8, off, s[20:23], 0 offset:80 ; 4-byte Folded Spill
	buffer_store_dword v168, off, s[20:23], 0 offset:48 ; 4-byte Folded Spill
	;; [unrolled: 1-line block ×3, first 2 shown]
	v_fmamk_f32 v2, v105, 0xbf2c7751, v128
	v_add_f32_e32 v0, v37, v36
	v_mul_f32_e32 v169, 0x3eb8f4ab, v111
	v_mul_f32_e32 v207, 0x3f7ee86f, v200
	;; [unrolled: 1-line block ×3, first 2 shown]
	v_add_f32_e32 v39, v89, v39
	v_add_f32_e32 v2, v2, v0
	v_fmamk_f32 v5, v108, 0x3f6eb680, v169
	v_add_f32_e32 v0, v175, v4
	v_mul_f32_e32 v175, 0x3f2c7751, v101
	buffer_store_dword v0, off, s[20:23], 0 offset:60 ; 4-byte Folded Spill
	buffer_store_dword v1, off, s[20:23], 0 offset:64 ; 4-byte Folded Spill
	v_add_f32_e32 v2, v3, v2
	v_fmamk_f32 v3, v104, 0xbf65296c, v176
	v_add_f32_e32 v4, v5, v119
	v_fmamk_f32 v5, v97, 0xbf59a7d5, v11
	v_mul_f32_e32 v119, 0xbe8c1d8e, v115
	v_mul_f32_e32 v209, 0x3dbcf732, v109
	v_add_f32_e32 v2, v3, v2
	v_mul_f32_e32 v210, 0xbf1a4643, v112
	v_add_f32_e32 v3, v5, v4
	v_fmamk_f32 v4, v96, 0x3f763a35, v119
	v_fmamk_f32 v5, v98, 0x3f3d2fb0, v175
	v_mul_f32_e32 v211, 0x3f6eb680, v117
	v_mul_f32_e32 v212, 0xbf7ba420, v113
	;; [unrolled: 1-line block ×3, first 2 shown]
	v_add_f32_e32 v2, v4, v2
	v_add_f32_e32 v3, v5, v3
	v_fmamk_f32 v4, v95, 0xbf1a4643, v203
	v_fmamk_f32 v5, v106, 0x3f7ee86f, v209
	v_add_f32_e32 v129, v88, v130
	v_mul_f32_e32 v214, 0xbf7ee86f, v99
	v_mul_f32_e32 v215, 0x3f4c4adb, v101
	v_add_f32_e32 v3, v4, v3
	v_fmamk_f32 v4, v93, 0x3ee437d1, v204
	v_add_f32_e32 v130, v88, v131
	v_add_f32_e32 v131, v88, v132
	;; [unrolled: 1-line block ×3, first 2 shown]
	v_mul_f32_e32 v10, 0xbe3c28d5, v114
	v_add_f32_e32 v3, v4, v3
	v_fmamk_f32 v4, v92, 0xbe8c1d8e, v205
	v_mul_f32_e32 v218, 0x3f2c7751, v116
	v_mul_f32_e32 v219, 0xbe8c1d8e, v198
	;; [unrolled: 1-line block ×4, first 2 shown]
	v_add_f32_e32 v4, v4, v3
	v_fmamk_f32 v3, v7, 0xbf7ee86f, v206
	v_add_f32_e32 v120, v89, v120
	v_mul_f32_e32 v222, 0xbf59a7d5, v112
	v_mul_f32_e32 v223, 0x3dbcf732, v117
	;; [unrolled: 1-line block ×3, first 2 shown]
	v_add_f32_e32 v1, v3, v2
	v_fmamk_f32 v2, v6, 0x3dbcf732, v207
	v_mul_f32_e32 v225, 0x3f763a35, v111
	v_mul_f32_e32 v226, 0xbeb8f4ab, v99
	v_mul_f32_e32 v227, 0xbf06c442, v101
	v_mul_f32_e32 v228, 0x3f7ee86f, v100
	v_add_f32_e32 v0, v2, v4
	v_fmamk_f32 v4, v107, 0xbf65296c, v208
	buffer_store_dword v0, off, s[20:23], 0 offset:68 ; 4-byte Folded Spill
	buffer_store_dword v1, off, s[20:23], 0 offset:72 ; 4-byte Folded Spill
	v_add_f32_e32 v4, v4, v39
	buffer_store_dword v174, off, s[20:23], 0 offset:92 ; 4-byte Folded Spill
	v_mul_f32_e32 v174, 0xbeb8f4ab, v100
	v_mul_f32_e32 v8, 0xbf2c7751, v114
	;; [unrolled: 1-line block ×3, first 2 shown]
	v_add_f32_e32 v4, v5, v4
	v_fmamk_f32 v5, v105, 0xbf4c4adb, v210
	v_mul_f32_e32 v231, 0x3ee437d1, v198
	v_mul_f32_e32 v232, 0x3f65296c, v200
	;; [unrolled: 1-line block ×3, first 2 shown]
	v_add_f32_e32 v122, v89, v122
	v_add_f32_e32 v4, v5, v4
	v_fmamk_f32 v5, v94, 0x3eb8f4ab, v211
	v_mul_f32_e32 v234, 0x3ee437d1, v112
	v_mul_f32_e32 v235, 0xbf7ba420, v117
	;; [unrolled: 1-line block ×4, first 2 shown]
	v_add_f32_e32 v4, v5, v4
	v_fmamk_f32 v5, v104, 0x3e3c28d5, v212
	v_add_f32_e32 v133, v88, v133
	v_add_f32_e32 v134, v88, v134
	;; [unrolled: 1-line block ×5, first 2 shown]
	v_fmamk_f32 v5, v108, 0x3ee437d1, v213
	v_add_f32_e32 v118, v88, v118
	v_mul_f32_e32 v238, 0x3f2c7751, v99
	v_mul_f32_e32 v239, 0xbf65296c, v101
	;; [unrolled: 1-line block ×3, first 2 shown]
	v_add_f32_e32 v5, v5, v129
	v_mul_f32_e32 v129, 0x3f3d2fb0, v115
	v_mul_f32_e32 v241, 0x3f7ee86f, v114
	;; [unrolled: 1-line block ×5, first 2 shown]
	v_fmamk_f32 v36, v96, 0xbf2c7751, v129
	v_mul_f32_e32 v245, 0xbf7ba420, v110
	v_add_f32_e32 v181, v89, v91
	v_mul_f32_e32 v246, 0x3f6eb680, v112
	v_mul_f32_e32 v247, 0x3ee437d1, v117
	v_add_f32_e32 v4, v36, v4
	v_fmamk_f32 v36, v97, 0x3dbcf732, v214
	v_mul_f32_e32 v248, 0xbf59a7d5, v113
	v_mul_f32_e32 v249, 0xbe3c28d5, v111
	;; [unrolled: 1-line block ×4, first 2 shown]
	v_add_f32_e32 v5, v36, v5
	v_fmamk_f32 v36, v98, 0xbf1a4643, v215
	v_mul_f32_e32 v252, 0xbf65296c, v100
	v_mul_f32_e32 v253, 0xbf06c442, v114
	;; [unrolled: 1-line block ×4, first 2 shown]
	v_add_f32_e32 v5, v36, v5
	v_fmamk_f32 v36, v95, 0x3f6eb680, v174
	v_mov_b32_e32 v193, v184
	v_mul_f32_e32 v184, 0x3f2c7751, v200
	v_mov_b32_e32 v196, v190
	v_mul_f32_e32 v190, 0xbf1a4643, v110
	v_add_f32_e32 v5, v36, v5
	v_fmamk_f32 v36, v93, 0xbf7ba420, v10
	v_mul_f32_e32 v191, 0xbe8c1d8e, v112
	v_mul_f32_e32 v192, 0x3f3d2fb0, v117
	buffer_store_dword v186, off, s[20:23], 0 offset:56 ; 4-byte Folded Spill
	v_mul_f32_e32 v186, 0x3f6eb680, v113
	v_add_f32_e32 v5, v36, v5
	v_fmamk_f32 v36, v92, 0x3f3d2fb0, v218
	v_mov_b32_e32 v121, v187
	v_mul_f32_e32 v187, 0xbf4c4adb, v111
	v_mov_b32_e32 v194, v188
	v_mul_f32_e32 v188, 0x3e3c28d5, v99
	v_add_f32_e32 v36, v36, v5
	v_fmamk_f32 v5, v7, 0x3f763a35, v219
	buffer_store_dword v182, off, s[20:23], 0 offset:140 ; 4-byte Folded Spill
	v_mul_f32_e32 v182, 0x3f763a35, v101
	v_mov_b32_e32 v125, v140
	v_mul_f32_e32 v140, 0x3f2c7751, v100
	v_add_f32_e32 v124, v5, v4
	v_fmamk_f32 v4, v6, 0xbe8c1d8e, v220
	v_mul_f32_e32 v23, 0xbeb8f4ab, v114
	v_mov_b32_e32 v183, v185
	v_mul_f32_e32 v185, 0xbf7ee86f, v116
	v_mov_b32_e32 v26, v170
	v_add_f32_e32 v123, v4, v36
	v_fmamk_f32 v36, v107, 0xbf763a35, v221
	v_mov_b32_e32 v27, v171
	v_mov_b32_e32 v171, v144
	;; [unrolled: 1-line block ×3, first 2 shown]
	v_mul_f32_e32 v143, 0xbf59a7d5, v198
	v_add_f32_e32 v36, v36, v120
	v_mul_f32_e32 v120, 0x3f6eb680, v109
	v_mul_f32_e32 v144, 0xbf06c442, v200
	v_mov_b32_e32 v126, v172
	v_mov_b32_e32 v127, v173
	;; [unrolled: 1-line block ×3, first 2 shown]
	v_fmamk_f32 v37, v106, 0x3eb8f4ab, v120
	v_mov_b32_e32 v172, v145
	v_mul_f32_e32 v145, 0x3dbcf732, v110
	v_mul_f32_e32 v146, 0xbf7ba420, v112
	v_mov_b32_e32 v0, v138
	v_add_f32_e32 v36, v37, v36
	v_fmamk_f32 v37, v105, 0x3f06c442, v222
	v_mov_b32_e32 v1, v139
	v_mov_b32_e32 v139, v137
	;; [unrolled: 1-line block ×4, first 2 shown]
	v_add_f32_e32 v36, v37, v36
	v_fmamk_f32 v37, v94, 0xbf7ee86f, v223
	v_mov_b32_e32 v137, v148
	v_mul_f32_e32 v147, 0xbf59a7d5, v117
	v_mul_f32_e32 v148, 0xbe8c1d8e, v113
	v_mov_b32_e32 v168, v160
	v_add_f32_e32 v36, v37, v36
	v_fmamk_f32 v37, v104, 0x3f2c7751, v224
	v_mov_b32_e32 v160, v149
	v_mul_f32_e32 v149, 0xbf7ee86f, v111
	v_mov_b32_e32 v20, v150
	v_mov_b32_e32 v21, v151
	v_add_f32_e32 v36, v37, v36
	v_fmamk_f32 v37, v108, 0xbe8c1d8e, v225
	v_mov_b32_e32 v217, v153
	v_mov_b32_e32 v216, v152
	;; [unrolled: 1-line block ×4, first 2 shown]
	v_add_f32_e32 v37, v37, v130
	v_mul_f32_e32 v130, 0xbf7ba420, v115
	v_mov_b32_e32 v230, v157
	v_mov_b32_e32 v229, v156
	v_mul_f32_e32 v156, 0x3f6eb680, v198
	v_mul_f32_e32 v157, 0x3eb8f4ab, v200
	v_fmamk_f32 v38, v96, 0x3e3c28d5, v130
	v_mov_b32_e32 v24, v165
	v_mov_b32_e32 v25, v166
	;; [unrolled: 1-line block ×4, first 2 shown]
	v_add_f32_e32 v36, v38, v36
	v_fmamk_f32 v38, v97, 0x3f6eb680, v226
	v_mov_b32_e32 v166, v158
	v_mul_f32_e32 v158, 0x3dbcf732, v112
	v_mul_f32_e32 v159, 0xbe8c1d8e, v117
	v_mov_b32_e32 v202, v162
	v_add_f32_e32 v37, v38, v37
	v_fmamk_f32 v38, v98, 0xbf59a7d5, v227
	v_mov_b32_e32 v201, v161
	v_mul_f32_e32 v161, 0xbf1a4643, v113
	v_mul_f32_e32 v162, 0xbf59a7d5, v115
	;; [unrolled: 1-line block ×3, first 2 shown]
	v_add_f32_e32 v37, v38, v37
	v_fmamk_f32 v38, v95, 0x3dbcf732, v228
	v_mul_f32_e32 v5, 0xbf65296c, v99
	v_mul_f32_e32 v165, 0xbf4c4adb, v114
	;; [unrolled: 1-line block ×4, first 2 shown]
	v_add_f32_e32 v37, v38, v37
	v_fmamk_f32 v38, v93, 0x3f3d2fb0, v8
	v_mul_f32_e32 v200, 0xbe3c28d5, v200
	v_fma_f32 v111, 0xbf59a7d5, v97, -v11
	v_fmac_f32_e32 v195, 0x3eb8f4ab, v107
	v_fmac_f32_e32 v197, 0xbf06c442, v106
	v_add_f32_e32 v37, v38, v37
	v_fmamk_f32 v38, v92, 0xbf7ba420, v9
	v_fmac_f32_e32 v128, 0x3f2c7751, v105
	v_fmac_f32_e32 v199, 0xbf4c4adb, v94
	;; [unrolled: 1-line block ×4, first 2 shown]
	v_add_f32_e32 v38, v38, v37
	v_fmamk_f32 v37, v7, 0xbf65296c, v231
	v_fmac_f32_e32 v206, 0x3f7ee86f, v7
	v_fma_f32 v112, 0x3dbcf732, v6, -v207
	v_fmac_f32_e32 v208, 0x3f65296c, v107
	v_fma_f32 v113, 0x3dbcf732, v97, -v214
	v_add_f32_e32 v37, v37, v36
	v_fmamk_f32 v36, v6, 0x3ee437d1, v232
	v_fmac_f32_e32 v209, 0xbf7ee86f, v106
	v_fmac_f32_e32 v210, 0x3f4c4adb, v105
	;; [unrolled: 1-line block ×4, first 2 shown]
	v_add_f32_e32 v36, v36, v38
	v_fmamk_f32 v38, v107, 0xbf06c442, v233
	v_fmac_f32_e32 v129, 0x3f2c7751, v96
	v_fmac_f32_e32 v219, 0xbf763a35, v7
	v_fmac_f32_e32 v221, 0x3f763a35, v107
	v_fmac_f32_e32 v120, 0xbeb8f4ab, v106
	v_add_f32_e32 v38, v38, v122
	v_mul_f32_e32 v122, 0x3f3d2fb0, v109
	v_fmac_f32_e32 v222, 0xbf06c442, v105
	v_fmac_f32_e32 v223, 0x3f7ee86f, v94
	;; [unrolled: 1-line block ×4, first 2 shown]
	v_fmamk_f32 v39, v106, 0xbf2c7751, v122
	v_fmac_f32_e32 v231, 0x3f65296c, v7
	v_fmac_f32_e32 v233, 0x3f06c442, v107
	;; [unrolled: 1-line block ×3, first 2 shown]
	v_fma_f32 v117, 0x3f3d2fb0, v97, -v238
	v_add_f32_e32 v38, v39, v38
	v_fmamk_f32 v39, v105, 0x3f65296c, v234
	v_fmac_f32_e32 v234, 0xbf65296c, v105
	buffer_load_dword v11, off, s[20:23], 0 offset:132 ; 4-byte Folded Reload
	v_add_f32_e32 v38, v39, v38
	v_fmamk_f32 v39, v94, 0x3e3c28d5, v235
	v_fmac_f32_e32 v235, 0xbe3c28d5, v94
	v_add_f32_e32 v38, v39, v38
	v_fmamk_f32 v39, v104, 0xbf7ee86f, v236
	v_fmac_f32_e32 v236, 0x3f7ee86f, v104
	v_add_f32_e32 v38, v39, v38
	v_fmamk_f32 v39, v108, 0xbf59a7d5, v237
	v_add_f32_e32 v39, v39, v131
	v_mul_f32_e32 v131, 0x3f6eb680, v115
	v_fmamk_f32 v88, v96, 0x3eb8f4ab, v131
	v_fmac_f32_e32 v131, 0xbeb8f4ab, v96
	v_add_f32_e32 v38, v88, v38
	v_fmamk_f32 v88, v97, 0x3f3d2fb0, v238
	v_add_f32_e32 v39, v88, v39
	v_fmamk_f32 v88, v98, 0x3ee437d1, v239
	v_add_f32_e32 v39, v88, v39
	v_fmamk_f32 v88, v95, 0xbf7ba420, v240
	v_add_f32_e32 v39, v88, v39
	v_fmamk_f32 v88, v93, 0x3dbcf732, v241
	v_add_f32_e32 v39, v88, v39
	v_fmamk_f32 v88, v92, 0x3f6eb680, v242
	v_add_f32_e32 v88, v88, v39
	v_fmamk_f32 v39, v7, 0x3f4c4adb, v243
	v_fmac_f32_e32 v243, 0xbf4c4adb, v7
	v_add_f32_e32 v39, v39, v38
	v_fmamk_f32 v38, v6, 0xbf1a4643, v244
	v_add_f32_e32 v38, v38, v88
	v_fmamk_f32 v88, v107, 0x3e3c28d5, v245
	v_fmac_f32_e32 v245, 0xbe3c28d5, v107
	v_add_f32_e32 v88, v88, v132
	v_mul_f32_e32 v132, 0xbe8c1d8e, v109
	v_fmamk_f32 v89, v106, 0xbf763a35, v132
	v_fmac_f32_e32 v132, 0x3f763a35, v106
	v_add_f32_e32 v88, v89, v88
	v_fmamk_f32 v89, v105, 0xbeb8f4ab, v246
	v_fmac_f32_e32 v246, 0x3eb8f4ab, v105
	v_add_f32_e32 v88, v89, v88
	v_fmamk_f32 v89, v94, 0x3f65296c, v247
	v_fmac_f32_e32 v247, 0xbf65296c, v94
	v_add_f32_e32 v88, v89, v88
	v_fmamk_f32 v89, v104, 0x3f06c442, v248
	v_fmac_f32_e32 v248, 0xbf06c442, v104
	v_add_f32_e32 v88, v89, v88
	v_fmamk_f32 v89, v108, 0xbf7ba420, v249
	v_add_f32_e32 v89, v89, v133
	v_mul_f32_e32 v133, 0xbf1a4643, v115
	v_fmamk_f32 v90, v96, 0xbf4c4adb, v133
	v_fmac_f32_e32 v133, 0x3f4c4adb, v96
	v_add_f32_e32 v88, v90, v88
	v_fmamk_f32 v90, v97, 0xbe8c1d8e, v250
	v_add_f32_e32 v89, v90, v89
	v_fmamk_f32 v90, v98, 0x3f6eb680, v251
	v_add_f32_e32 v89, v90, v89
	v_fmamk_f32 v90, v95, 0x3ee437d1, v252
	v_add_f32_e32 v89, v90, v89
	v_fmamk_f32 v90, v93, 0xbf59a7d5, v253
	v_add_f32_e32 v89, v90, v89
	v_fmamk_f32 v90, v92, 0xbf1a4643, v254
	v_add_f32_e32 v90, v90, v89
	v_fmamk_f32 v89, v7, 0xbf2c7751, v255
	v_fmac_f32_e32 v255, 0x3f2c7751, v7
	v_add_f32_e32 v89, v89, v88
	v_fmamk_f32 v88, v6, 0x3f3d2fb0, v184
	v_add_f32_e32 v88, v88, v90
	v_fmamk_f32 v90, v107, 0x3f4c4adb, v190
	v_fmac_f32_e32 v190, 0xbf4c4adb, v107
	v_add_f32_e32 v90, v90, v178
	v_mul_f32_e32 v178, 0xbf7ba420, v109
	v_fmamk_f32 v91, v106, 0xbe3c28d5, v178
	v_fmac_f32_e32 v178, 0x3e3c28d5, v106
	v_add_f32_e32 v90, v91, v90
	v_fmamk_f32 v91, v105, 0xbf763a35, v191
	v_fmac_f32_e32 v191, 0x3f763a35, v105
	;; [unrolled: 37-line block ×3, first 2 shown]
	v_add_f32_e32 v102, v103, v102
	v_fmamk_f32 v103, v94, 0xbf06c442, v147
	v_fmac_f32_e32 v147, 0x3f06c442, v94
	v_add_f32_e32 v102, v103, v102
	v_fmamk_f32 v103, v104, 0xbf763a35, v148
	v_fmac_f32_e32 v148, 0x3f763a35, v104
	v_add_f32_e32 v102, v103, v102
	v_fmamk_f32 v103, v108, 0x3dbcf732, v149
	v_add_f32_e32 v103, v103, v135
	v_mul_f32_e32 v135, 0x3ee437d1, v115
	v_fma_f32 v115, 0x3f6eb680, v97, -v226
	v_fmamk_f32 v150, v96, 0xbf65296c, v135
	v_fmac_f32_e32 v135, 0x3f65296c, v96
	v_add_f32_e32 v102, v150, v102
	v_mul_f32_e32 v150, 0xbf4c4adb, v99
	v_fmamk_f32 v99, v97, 0x3ee437d1, v5
	v_fmamk_f32 v151, v97, 0xbf1a4643, v150
	v_add_f32_e32 v103, v151, v103
	v_mul_f32_e32 v151, 0xbe3c28d5, v101
	v_mul_f32_e32 v101, 0xbf7ee86f, v101
	v_fmamk_f32 v152, v98, 0xbf7ba420, v151
	v_add_f32_e32 v103, v152, v103
	v_mul_f32_e32 v152, 0x3f06c442, v100
	v_fmamk_f32 v153, v95, 0xbf59a7d5, v152
	v_add_f32_e32 v103, v153, v103
	v_mul_f32_e32 v153, 0x3f763a35, v114
	v_fma_f32 v114, 0xbe8c1d8e, v6, -v220
	v_fmamk_f32 v154, v93, 0xbe8c1d8e, v153
	v_add_f32_e32 v103, v154, v103
	v_mul_f32_e32 v154, 0x3f65296c, v116
	v_fma_f32 v116, 0x3ee437d1, v6, -v232
	v_fmamk_f32 v155, v92, 0x3ee437d1, v154
	v_add_f32_e32 v155, v155, v103
	v_fmamk_f32 v103, v7, 0xbeb8f4ab, v156
	v_fmac_f32_e32 v156, 0x3eb8f4ab, v7
	v_add_f32_e32 v103, v103, v102
	v_fmamk_f32 v102, v6, 0x3f6eb680, v157
	v_add_f32_e32 v102, v102, v155
	v_mul_f32_e32 v155, 0x3f3d2fb0, v110
	v_fmamk_f32 v110, v107, 0x3f2c7751, v155
	v_fmac_f32_e32 v155, 0xbf2c7751, v107
	v_fma_f32 v107, 0xbf59a7d5, v6, -v144
	v_add_f32_e32 v110, v110, v181
	v_mul_f32_e32 v181, 0x3ee437d1, v109
	v_fmamk_f32 v109, v106, 0x3f65296c, v181
	v_fmac_f32_e32 v181, 0xbf65296c, v106
	v_fma_f32 v106, 0xbf7ba420, v98, -v151
	v_add_f32_e32 v109, v109, v110
	v_fmamk_f32 v110, v105, 0x3f7ee86f, v158
	v_fmac_f32_e32 v158, 0xbf7ee86f, v105
	v_add_f32_e32 v109, v110, v109
	v_fmamk_f32 v110, v94, 0x3f763a35, v159
	v_fmac_f32_e32 v159, 0xbf763a35, v94
	;; [unrolled: 3-line block ×4, first 2 shown]
	v_add_f32_e32 v109, v110, v109
	v_fmamk_f32 v110, v108, 0x3f3d2fb0, v4
	v_add_f32_e32 v110, v110, v177
	v_mul_f32_e32 v177, 0xbf763a35, v100
	v_add_f32_e32 v99, v99, v110
	v_fmamk_f32 v110, v98, 0x3dbcf732, v101
	v_fmamk_f32 v100, v95, 0xbe8c1d8e, v177
	v_fma_f32 v94, 0xbe8c1d8e, v95, -v177
	v_add_f32_e32 v99, v110, v99
	v_fma_f32 v110, 0x3f6eb680, v108, -v169
	v_add_f32_e32 v99, v100, v99
	v_fmamk_f32 v100, v93, 0xbf1a4643, v165
	v_add_f32_e32 v110, v110, v118
	v_fma_f32 v118, 0xbf1a4643, v6, -v244
	v_add_f32_e32 v99, v100, v99
	v_fmamk_f32 v100, v92, 0xbf59a7d5, v22
	;; [unrolled: 4-line block ×3, first 2 shown]
	v_add_f32_e32 v110, v111, v110
	v_fma_f32 v111, 0xbf1a4643, v95, -v203
	v_fmac_f32_e32 v198, 0xbe3c28d5, v7
	v_add_f32_e32 v100, v100, v109
	v_fmamk_f32 v109, v6, 0xbf7ba420, v200
	v_add_f32_e32 v110, v111, v110
	v_fma_f32 v111, 0x3ee437d1, v93, -v204
	v_add_f32_e32 v99, v109, v99
	buffer_load_dword v109, off, s[20:23], 0 offset:136 ; 4-byte Folded Reload
	v_add_f32_e32 v110, v111, v110
	v_fma_f32 v111, 0xbe8c1d8e, v92, -v205
	v_add_f32_e32 v111, v111, v110
	s_waitcnt vmcnt(0)
	v_add_f32_e32 v109, v195, v109
	v_add_f32_e32 v109, v197, v109
	;; [unrolled: 1-line block ×6, first 2 shown]
	v_fma_f32 v119, 0xbe8c1d8e, v97, -v250
	v_add_f32_e32 v110, v206, v109
	v_add_f32_e32 v109, v112, v111
	;; [unrolled: 1-line block ×3, first 2 shown]
	buffer_load_dword v11, off, s[20:23], 0 offset:128 ; 4-byte Folded Reload
	v_fma_f32 v112, 0x3ee437d1, v108, -v213
	v_add_f32_e32 v111, v209, v111
	v_add_f32_e32 v111, v210, v111
	;; [unrolled: 1-line block ×5, first 2 shown]
	s_waitcnt vmcnt(0)
	v_add_f32_e32 v112, v112, v11
	v_add_f32_e32 v112, v113, v112
	v_fma_f32 v113, 0xbf1a4643, v98, -v215
	v_add_f32_e32 v112, v113, v112
	v_fma_f32 v113, 0x3f6eb680, v95, -v174
	;; [unrolled: 2-line block ×3, first 2 shown]
	buffer_load_dword v10, off, s[20:23], 0 offset:124 ; 4-byte Folded Reload
	v_add_f32_e32 v112, v113, v112
	v_fma_f32 v113, 0x3f3d2fb0, v92, -v218
	v_add_f32_e32 v113, v113, v112
	v_add_f32_e32 v112, v219, v111
	;; [unrolled: 1-line block ×3, first 2 shown]
	v_fma_f32 v114, 0xbe8c1d8e, v108, -v225
	s_waitcnt vmcnt(0)
	v_add_f32_e32 v113, v221, v10
	buffer_load_dword v10, off, s[20:23], 0 offset:120 ; 4-byte Folded Reload
	v_add_f32_e32 v113, v120, v113
	v_fma_f32 v120, 0x3f3d2fb0, v6, -v184
	v_mov_b32_e32 v184, v193
	v_add_f32_e32 v113, v222, v113
	v_add_f32_e32 v113, v223, v113
	;; [unrolled: 1-line block ×4, first 2 shown]
	s_waitcnt vmcnt(0)
	v_add_f32_e32 v114, v114, v10
	v_add_f32_e32 v114, v115, v114
	v_fma_f32 v115, 0xbf59a7d5, v98, -v227
	v_add_f32_e32 v114, v115, v114
	v_fma_f32 v115, 0x3dbcf732, v95, -v228
	;; [unrolled: 2-line block ×3, first 2 shown]
	buffer_load_dword v8, off, s[20:23], 0 offset:116 ; 4-byte Folded Reload
	v_add_f32_e32 v114, v115, v114
	v_fma_f32 v115, 0xbf7ba420, v92, -v9
	v_add_f32_e32 v115, v115, v114
	v_add_f32_e32 v114, v231, v113
	;; [unrolled: 1-line block ×3, first 2 shown]
	v_fma_f32 v116, 0xbf59a7d5, v108, -v237
	s_waitcnt vmcnt(0)
	v_add_f32_e32 v115, v233, v8
	buffer_load_dword v8, off, s[20:23], 0 offset:112 ; 4-byte Folded Reload
	v_add_f32_e32 v115, v122, v115
	v_fma_f32 v122, 0x3dbcf732, v108, -v149
	v_mov_b32_e32 v149, v160
	v_mov_b32_e32 v160, v168
	v_add_f32_e32 v115, v234, v115
	v_add_f32_e32 v115, v235, v115
	;; [unrolled: 1-line block ×4, first 2 shown]
	s_waitcnt vmcnt(0)
	v_add_f32_e32 v116, v116, v8
	buffer_load_dword v8, off, s[20:23], 0 offset:104 ; 4-byte Folded Reload
	v_add_f32_e32 v116, v117, v116
	v_fma_f32 v117, 0x3ee437d1, v98, -v239
	v_add_f32_e32 v116, v117, v116
	v_fma_f32 v117, 0xbf7ba420, v95, -v240
	;; [unrolled: 2-line block ×4, first 2 shown]
	v_add_f32_e32 v117, v117, v116
	v_add_f32_e32 v116, v243, v115
	;; [unrolled: 1-line block ×3, first 2 shown]
	v_fma_f32 v118, 0xbf7ba420, v108, -v249
	s_waitcnt vmcnt(0)
	v_add_f32_e32 v117, v245, v8
	buffer_load_dword v8, off, s[20:23], 0 offset:108 ; 4-byte Folded Reload
	v_add_f32_e32 v117, v132, v117
	v_add_f32_e32 v117, v246, v117
	;; [unrolled: 1-line block ×5, first 2 shown]
	s_waitcnt vmcnt(0)
	v_add_f32_e32 v118, v118, v8
	buffer_load_dword v8, off, s[20:23], 0 offset:100 ; 4-byte Folded Reload
	v_add_f32_e32 v118, v119, v118
	v_fma_f32 v119, 0x3f6eb680, v98, -v251
	v_add_f32_e32 v118, v119, v118
	v_fma_f32 v119, 0x3ee437d1, v95, -v252
	;; [unrolled: 2-line block ×4, first 2 shown]
	v_add_f32_e32 v119, v119, v118
	v_add_f32_e32 v118, v255, v117
	;; [unrolled: 1-line block ×3, first 2 shown]
	v_fma_f32 v120, 0xbf1a4643, v108, -v187
	v_mov_b32_e32 v187, v121
	v_fma_f32 v121, 0xbf7ba420, v97, -v188
	v_mov_b32_e32 v188, v194
	s_waitcnt vmcnt(0)
	v_add_f32_e32 v119, v190, v8
	buffer_load_dword v8, off, s[20:23], 0 offset:96 ; 4-byte Folded Reload
	v_mov_b32_e32 v190, v196
	v_add_f32_e32 v119, v178, v119
	v_add_f32_e32 v119, v191, v119
	v_add_nc_u32_e32 v191, 0x110, v180
	v_add_f32_e32 v119, v192, v119
	v_add_f32_e32 v119, v186, v119
	buffer_load_dword v186, off, s[20:23], 0 offset:56 ; 4-byte Folded Reload
	v_add_f32_e32 v119, v134, v119
	s_waitcnt vmcnt(1)
	v_add_f32_e32 v120, v120, v8
	buffer_load_dword v8, off, s[20:23], 0 offset:88 ; 4-byte Folded Reload
	v_add_f32_e32 v120, v121, v120
	v_fma_f32 v121, 0xbe8c1d8e, v98, -v182
	v_add_f32_e32 v120, v121, v120
	v_fma_f32 v121, 0x3f3d2fb0, v95, -v140
	v_mov_b32_e32 v140, v125
	v_add_f32_e32 v120, v121, v120
	v_fma_f32 v121, 0x3f6eb680, v93, -v23
	v_add_f32_e32 v120, v121, v120
	v_fma_f32 v121, 0x3dbcf732, v92, -v185
	v_mov_b32_e32 v185, v183
	v_add_f32_e32 v121, v121, v120
	v_add_f32_e32 v120, v143, v119
	v_mov_b32_e32 v143, v170
	v_mov_b32_e32 v144, v171
	;; [unrolled: 1-line block ×3, first 2 shown]
	v_add_f32_e32 v119, v107, v121
	v_fma_f32 v107, 0x3f3d2fb0, v108, -v4
	buffer_load_dword v4, off, s[20:23], 0 offset:84 ; 4-byte Folded Reload
	v_fma_f32 v108, 0xbf1a4643, v97, -v150
	v_fma_f32 v97, 0x3ee437d1, v97, -v5
	v_mov_b32_e32 v151, v21
	v_mov_b32_e32 v170, v26
	;; [unrolled: 1-line block ×3, first 2 shown]
	s_waitcnt vmcnt(0)
	v_add_f32_e32 v10, v122, v4
	buffer_load_dword v4, off, s[20:23], 0 offset:80 ; 4-byte Folded Reload
	v_add_f32_e32 v10, v108, v10
	v_add_f32_e32 v10, v106, v10
	s_waitcnt vmcnt(0)
	v_add_f32_e32 v9, v155, v4
	buffer_load_dword v4, off, s[20:23], 0 offset:76 ; 4-byte Folded Reload
	v_add_f32_e32 v11, v145, v8
	s_clause 0x1
	buffer_load_dword v168, off, s[20:23], 0 offset:48
	buffer_load_dword v169, off, s[20:23], 0 offset:52
	v_add_f32_e32 v9, v181, v9
	v_add_f32_e32 v11, v179, v11
	;; [unrolled: 1-line block ×4, first 2 shown]
	v_mov_b32_e32 v145, v172
	v_mov_b32_e32 v146, v173
	v_add_f32_e32 v9, v159, v9
	v_mov_b32_e32 v158, v166
	v_add_f32_e32 v11, v147, v11
	v_mov_b32_e32 v173, v127
	v_mov_b32_e32 v159, v167
	v_add_f32_e32 v9, v161, v9
	v_mov_b32_e32 v172, v126
	v_add_f32_e32 v11, v148, v11
	v_mov_b32_e32 v148, v137
	v_mov_b32_e32 v147, v136
	;; [unrolled: 1-line block ×6, first 2 shown]
	s_clause 0x1
	buffer_load_dword v0, off, s[20:23], 0 offset:92
	buffer_load_dword v1, off, s[20:23], 0 offset:140
	v_add_f32_e32 v11, v135, v11
	v_add_f32_e32 v9, v162, v9
	v_mov_b32_e32 v161, v201
	v_mov_b32_e32 v167, v189
	;; [unrolled: 1-line block ×3, first 2 shown]
	v_add_f32_e32 v7, v156, v11
	v_add_f32_e32 v9, v198, v9
	s_waitcnt vmcnt(4)
	v_add_f32_e32 v8, v107, v4
	v_add_f32_e32 v8, v97, v8
	v_fma_f32 v97, 0x3dbcf732, v98, -v101
	v_fma_f32 v98, 0xbf59a7d5, v95, -v152
	;; [unrolled: 1-line block ×4, first 2 shown]
	v_mov_b32_e32 v152, v216
	v_add_f32_e32 v8, v97, v8
	v_add_f32_e32 v10, v98, v10
	v_mov_b32_e32 v166, v25
	v_mov_b32_e32 v153, v217
	;; [unrolled: 1-line block ×3, first 2 shown]
	v_add_f32_e32 v8, v94, v8
	v_add_f32_e32 v10, v95, v10
	v_fma_f32 v94, 0x3ee437d1, v92, -v154
	v_fma_f32 v92, 0xbf59a7d5, v92, -v22
	v_mov_b32_e32 v155, v3
	v_add_f32_e32 v8, v93, v8
	v_fma_f32 v93, 0x3f6eb680, v6, -v157
	v_add_f32_e32 v10, v94, v10
	v_mov_b32_e32 v156, v229
	v_mov_b32_e32 v154, v2
	v_add_f32_e32 v8, v92, v8
	v_fma_f32 v92, 0xbf7ba420, v6, -v200
	s_waitcnt vmcnt(0)
	v_lshl_add_u32 v94, v1, 3, v0
	s_clause 0x1
	buffer_load_dword v0, off, s[20:23], 0 offset:60
	buffer_load_dword v1, off, s[20:23], 0 offset:64
	v_mov_b32_e32 v157, v230
	v_add_f32_e32 v6, v93, v10
	v_add_f32_e32 v8, v92, v8
	s_waitcnt vmcnt(0)
	ds_write2_b64 v94, v[0:1], v[99:100] offset1:1
	ds_write2_b64 v94, v[102:103], v[90:91] offset0:2 offset1:3
	ds_write2_b64 v94, v[88:89], v[38:39] offset0:4 offset1:5
	;; [unrolled: 1-line block ×3, first 2 shown]
	s_clause 0x1
	buffer_load_dword v0, off, s[20:23], 0 offset:68
	buffer_load_dword v1, off, s[20:23], 0 offset:72
	s_waitcnt vmcnt(0)
	ds_write2_b64 v94, v[0:1], v[109:110] offset0:8 offset1:9
	ds_write2_b64 v94, v[111:112], v[113:114] offset0:10 offset1:11
	;; [unrolled: 1-line block ×4, first 2 shown]
	ds_write_b64 v94, v[8:9] offset:128
.LBB0_13:
	s_or_b32 exec_lo, exec_lo, s0
	s_waitcnt lgkmcnt(0)
	s_waitcnt_vscnt null, 0x0
	s_barrier
	buffer_gl0_inv
	ds_read2_b64 v[0:3], v180 offset0:68 offset1:85
	ds_read2_b64 v[88:91], v180 offset0:170 offset1:187
	;; [unrolled: 1-line block ×3, first 2 shown]
	v_add_nc_u32_e32 v36, 0x800, v180
	ds_read2_b64 v[8:11], v180 offset1:17
	ds_read2_b64 v[96:99], v180 offset0:102 offset1:119
	ds_read2_b64 v[100:103], v36 offset0:84 offset1:101
	;; [unrolled: 1-line block ×5, first 2 shown]
	ds_read_b64 v[37:38], v180 offset:3264
	ds_read2_b64 v[112:115], v36 offset0:16 offset1:33
	ds_read2_b64 v[116:119], v36 offset0:118 offset1:135
	;; [unrolled: 1-line block ×3, first 2 shown]
	s_mov_b32 s2, 0xace01346
	s_mov_b32 s3, 0x3f634679
	s_mul_hi_u32 s1, s8, 25
	s_waitcnt lgkmcnt(12)
	v_mul_f32_e32 v39, v17, v3
	v_mul_f32_e32 v124, v17, v2
	s_waitcnt lgkmcnt(11)
	v_mul_f32_e32 v125, v19, v89
	v_mul_f32_e32 v126, v19, v88
	;; [unrolled: 3-line block ×3, first 2 shown]
	v_fmac_f32_e32 v39, v16, v2
	v_fma_f32 v124, v16, v3, -v124
	v_fmac_f32_e32 v125, v18, v88
	v_fma_f32 v88, v18, v89, -v126
	;; [unrolled: 2-line block ×3, first 2 shown]
	s_waitcnt lgkmcnt(7)
	v_mul_f32_e32 v94, v15, v101
	v_mul_f32_e32 v2, v15, v100
	;; [unrolled: 1-line block ×5, first 2 shown]
	v_fmac_f32_e32 v94, v14, v100
	v_fma_f32 v100, v14, v101, -v2
	v_fmac_f32_e32 v95, v16, v96
	v_fma_f32 v96, v16, v97, -v3
	v_fmac_f32_e32 v126, v18, v90
	v_mul_f32_e32 v2, v19, v90
	s_waitcnt lgkmcnt(2)
	v_mul_f32_e32 v90, v13, v113
	v_mul_f32_e32 v3, v13, v112
	;; [unrolled: 1-line block ×4, first 2 shown]
	v_fma_f32 v91, v18, v91, -v2
	v_mul_f32_e32 v2, v45, v98
	v_fma_f32 v101, v12, v113, -v3
	v_fmac_f32_e32 v97, v14, v102
	v_fma_f32 v102, v14, v103, -v13
	s_clause 0x7
	buffer_load_dword v13, off, s[20:23], 0 offset:32
	buffer_load_dword v14, off, s[20:23], 0 offset:36
	;; [unrolled: 1-line block ×8, first 2 shown]
	v_mul_f32_e32 v103, v45, v99
	v_mul_f32_e32 v45, v47, v105
	;; [unrolled: 1-line block ×3, first 2 shown]
	v_fmac_f32_e32 v90, v12, v112
	v_mul_f32_e32 v12, v33, v108
	v_fmac_f32_e32 v103, v44, v98
	v_fma_f32 v44, v44, v99, -v2
	v_fmac_f32_e32 v45, v46, v104
	v_fma_f32 v46, v46, v105, -v3
	v_mul_f32_e32 v2, v41, v114
	s_waitcnt lgkmcnt(1)
	v_mul_f32_e32 v3, v43, v116
	v_mul_f32_e32 v99, v33, v109
	;; [unrolled: 1-line block ×3, first 2 shown]
	v_fma_f32 v105, v32, v109, -v12
	v_fma_f32 v43, v40, v115, -v2
	;; [unrolled: 1-line block ×3, first 2 shown]
	v_fmac_f32_e32 v99, v32, v108
	v_mul_f32_e32 v108, v35, v107
	v_mul_f32_e32 v2, v35, v106
	s_waitcnt lgkmcnt(0)
	v_mul_f32_e32 v3, v29, v120
	v_mul_f32_e32 v35, v29, v121
	v_add_f32_e32 v17, v39, v94
	v_fmac_f32_e32 v108, v34, v106
	v_fma_f32 v106, v34, v107, -v2
	v_fma_f32 v107, v28, v121, -v3
	v_mul_f32_e32 v2, v31, v118
	v_fmac_f32_e32 v35, v28, v120
	v_add_f32_e32 v26, v88, v89
	v_sub_f32_e32 v27, v39, v94
	v_mul_f32_e32 v109, v31, v119
	v_fma_f32 v112, v30, v119, -v2
	v_add_f32_e32 v2, v125, v127
	v_sub_f32_e32 v29, v100, v89
	v_add_f32_e32 v31, v10, v95
	v_fmac_f32_e32 v109, v30, v118
	v_add_f32_e32 v30, v126, v90
	v_fma_f32 v2, -0.5, v2, v8
	v_sub_f32_e32 v33, v97, v90
	v_add_f32_e32 v34, v95, v97
	v_sub_f32_e32 v32, v91, v101
	v_mul_f32_e32 v47, v41, v115
	v_add_f32_e32 v41, v4, v103
	v_fmac_f32_e32 v98, v42, v116
	v_sub_f32_e32 v42, v46, v43
	s_waitcnt vmcnt(0)
	v_fmac_f32_e32 v47, v40, v114
	s_barrier
	buffer_gl0_inv
	v_add_f32_e32 v40, v45, v47
	v_mul_f32_e32 v3, v14, v110
	v_mul_f32_e32 v12, v16, v92
	;; [unrolled: 1-line block ×5, first 2 shown]
	v_fma_f32 v18, v13, v111, -v3
	v_fma_f32 v19, v15, v93, -v12
	v_mul_f32_e32 v3, v21, v122
	v_add_f32_e32 v12, v8, v39
	v_fmac_f32_e32 v24, v20, v122
	v_fmac_f32_e32 v28, v13, v110
	v_mul_f32_e32 v110, v23, v38
	v_fma_f32 v20, v20, v123, -v3
	v_add_f32_e32 v3, v12, v125
	v_sub_f32_e32 v13, v124, v100
	v_sub_f32_e32 v14, v39, v125
	;; [unrolled: 1-line block ×3, first 2 shown]
	v_mul_f32_e32 v21, v23, v37
	v_add_f32_e32 v3, v3, v127
	v_fmac_f32_e32 v25, v15, v92
	v_fmac_f32_e32 v110, v22, v37
	v_fmamk_f32 v12, v13, 0xbf737871, v2
	v_sub_f32_e32 v15, v88, v89
	v_add_f32_e32 v23, v14, v16
	v_fma_f32 v8, -0.5, v17, v8
	v_fma_f32 v21, v22, v38, -v21
	v_add_f32_e32 v16, v3, v94
	v_fmac_f32_e32 v2, 0x3f737871, v13
	v_sub_f32_e32 v3, v125, v39
	v_sub_f32_e32 v17, v127, v94
	v_add_f32_e32 v22, v9, v124
	v_fmac_f32_e32 v12, 0xbf167918, v15
	v_fmamk_f32 v14, v15, 0x3f737871, v8
	v_fmac_f32_e32 v2, 0x3f167918, v15
	v_add_f32_e32 v17, v3, v17
	v_fmac_f32_e32 v8, 0xbf737871, v15
	v_add_f32_e32 v15, v22, v88
	v_fma_f32 v3, -0.5, v26, v9
	v_add_f32_e32 v22, v124, v100
	v_fmac_f32_e32 v12, 0x3e9e377a, v23
	v_fmac_f32_e32 v14, 0xbf167918, v13
	;; [unrolled: 1-line block ×4, first 2 shown]
	v_add_f32_e32 v15, v15, v89
	v_fmamk_f32 v13, v27, 0x3f737871, v3
	v_sub_f32_e32 v23, v125, v127
	v_sub_f32_e32 v26, v124, v88
	v_fma_f32 v9, -0.5, v22, v9
	v_fmac_f32_e32 v3, 0xbf737871, v27
	v_fmac_f32_e32 v14, 0x3e9e377a, v17
	;; [unrolled: 1-line block ×3, first 2 shown]
	v_add_f32_e32 v17, v15, v100
	v_fmac_f32_e32 v13, 0x3f167918, v23
	v_add_f32_e32 v26, v26, v29
	v_fmamk_f32 v15, v23, 0xbf737871, v9
	v_sub_f32_e32 v22, v88, v124
	v_sub_f32_e32 v29, v89, v100
	v_fmac_f32_e32 v3, 0xbf167918, v23
	v_fmac_f32_e32 v9, 0x3f737871, v23
	v_add_f32_e32 v23, v31, v126
	v_fmac_f32_e32 v15, 0x3f167918, v27
	v_add_f32_e32 v29, v22, v29
	v_fma_f32 v22, -0.5, v30, v10
	v_sub_f32_e32 v30, v96, v102
	v_sub_f32_e32 v31, v95, v126
	v_fmac_f32_e32 v9, 0xbf167918, v27
	v_add_f32_e32 v23, v23, v90
	v_fmac_f32_e32 v13, 0x3e9e377a, v26
	v_fmac_f32_e32 v3, 0x3e9e377a, v26
	;; [unrolled: 1-line block ×3, first 2 shown]
	v_fmamk_f32 v26, v30, 0xbf737871, v22
	v_add_f32_e32 v27, v31, v33
	v_fma_f32 v10, -0.5, v34, v10
	v_fmac_f32_e32 v9, 0x3e9e377a, v29
	v_add_f32_e32 v29, v23, v97
	v_fmac_f32_e32 v22, 0x3f737871, v30
	v_sub_f32_e32 v23, v126, v95
	v_sub_f32_e32 v33, v90, v97
	v_add_f32_e32 v34, v11, v96
	v_add_f32_e32 v37, v91, v101
	v_fmac_f32_e32 v26, 0xbf167918, v32
	v_fmamk_f32 v31, v32, 0x3f737871, v10
	v_fmac_f32_e32 v22, 0x3f167918, v32
	v_add_f32_e32 v33, v23, v33
	v_fmac_f32_e32 v10, 0xbf737871, v32
	v_add_f32_e32 v32, v34, v91
	v_fma_f32 v23, -0.5, v37, v11
	v_sub_f32_e32 v34, v95, v97
	v_fmac_f32_e32 v26, 0x3e9e377a, v27
	v_fmac_f32_e32 v31, 0xbf167918, v30
	;; [unrolled: 1-line block ×4, first 2 shown]
	v_add_f32_e32 v30, v32, v101
	v_fmamk_f32 v27, v34, 0x3f737871, v23
	v_add_f32_e32 v32, v96, v102
	v_sub_f32_e32 v37, v126, v90
	v_sub_f32_e32 v38, v96, v91
	;; [unrolled: 1-line block ×3, first 2 shown]
	v_fmac_f32_e32 v23, 0xbf737871, v34
	v_fmac_f32_e32 v11, -0.5, v32
	v_fmac_f32_e32 v27, 0x3f167918, v37
	v_fmac_f32_e32 v31, 0x3e9e377a, v33
	v_add_f32_e32 v38, v38, v39
	v_fmac_f32_e32 v23, 0xbf167918, v37
	v_fmac_f32_e32 v10, 0x3e9e377a, v33
	v_fmamk_f32 v32, v37, 0xbf737871, v11
	v_sub_f32_e32 v33, v91, v96
	v_sub_f32_e32 v39, v101, v102
	v_fmac_f32_e32 v27, 0x3e9e377a, v38
	v_fmac_f32_e32 v23, 0x3e9e377a, v38
	;; [unrolled: 1-line block ×3, first 2 shown]
	v_add_f32_e32 v38, v41, v45
	v_fmac_f32_e32 v32, 0x3f167918, v34
	v_add_f32_e32 v39, v33, v39
	v_fma_f32 v33, -0.5, v40, v4
	v_sub_f32_e32 v40, v44, v104
	v_sub_f32_e32 v41, v103, v45
	;; [unrolled: 1-line block ×3, first 2 shown]
	v_add_f32_e32 v89, v103, v98
	v_fmac_f32_e32 v11, 0xbf167918, v34
	v_add_f32_e32 v34, v38, v47
	v_fmac_f32_e32 v32, 0x3e9e377a, v39
	v_fmamk_f32 v37, v40, 0xbf737871, v33
	v_add_f32_e32 v38, v41, v88
	v_fma_f32 v4, -0.5, v89, v4
	v_fmac_f32_e32 v11, 0x3e9e377a, v39
	v_add_f32_e32 v39, v34, v98
	v_fmac_f32_e32 v33, 0x3f737871, v40
	v_sub_f32_e32 v34, v45, v103
	v_sub_f32_e32 v88, v47, v98
	v_add_f32_e32 v89, v5, v44
	v_add_f32_e32 v90, v46, v43
	v_fmac_f32_e32 v37, 0xbf167918, v42
	v_fmamk_f32 v41, v42, 0x3f737871, v4
	v_fmac_f32_e32 v33, 0x3f167918, v42
	v_add_f32_e32 v88, v34, v88
	v_fmac_f32_e32 v4, 0xbf737871, v42
	v_add_f32_e32 v42, v89, v46
	v_fma_f32 v34, -0.5, v90, v5
	v_sub_f32_e32 v89, v103, v98
	v_fmac_f32_e32 v37, 0x3e9e377a, v38
	v_fmac_f32_e32 v41, 0xbf167918, v40
	;; [unrolled: 1-line block ×4, first 2 shown]
	v_add_f32_e32 v40, v42, v43
	v_fmamk_f32 v38, v89, 0x3f737871, v34
	v_add_f32_e32 v42, v44, v104
	v_sub_f32_e32 v45, v45, v47
	v_sub_f32_e32 v47, v44, v46
	;; [unrolled: 1-line block ×3, first 2 shown]
	v_fmac_f32_e32 v34, 0xbf737871, v89
	v_fmac_f32_e32 v41, 0x3e9e377a, v88
	;; [unrolled: 1-line block ×3, first 2 shown]
	v_fma_f32 v5, -0.5, v42, v5
	v_fmac_f32_e32 v38, 0x3f167918, v45
	v_add_f32_e32 v47, v47, v90
	v_sub_f32_e32 v44, v46, v44
	v_sub_f32_e32 v43, v43, v104
	v_add_f32_e32 v46, v108, v35
	v_fmac_f32_e32 v34, 0xbf167918, v45
	v_add_f32_e32 v88, v6, v99
	v_fmamk_f32 v42, v45, 0xbf737871, v5
	v_fmac_f32_e32 v38, 0x3e9e377a, v47
	v_add_f32_e32 v44, v44, v43
	v_fma_f32 v43, -0.5, v46, v6
	v_sub_f32_e32 v46, v105, v112
	v_fmac_f32_e32 v34, 0x3e9e377a, v47
	v_fmac_f32_e32 v5, 0x3f737871, v45
	v_add_f32_e32 v47, v88, v108
	v_add_f32_e32 v92, v99, v109
	v_fmac_f32_e32 v42, 0x3f167918, v89
	v_fmamk_f32 v45, v46, 0xbf737871, v43
	v_sub_f32_e32 v91, v106, v107
	v_sub_f32_e32 v88, v99, v108
	v_sub_f32_e32 v90, v109, v35
	v_fmac_f32_e32 v5, 0xbf167918, v89
	v_add_f32_e32 v47, v47, v35
	v_fma_f32 v6, -0.5, v92, v6
	v_fmac_f32_e32 v43, 0x3f737871, v46
	v_add_f32_e32 v92, v7, v105
	v_fmac_f32_e32 v42, 0x3e9e377a, v44
	v_fmac_f32_e32 v45, 0xbf167918, v91
	v_add_f32_e32 v89, v88, v90
	v_fmac_f32_e32 v5, 0x3e9e377a, v44
	v_add_f32_e32 v88, v47, v109
	v_fmamk_f32 v90, v91, 0x3f737871, v6
	v_sub_f32_e32 v44, v108, v99
	v_sub_f32_e32 v47, v35, v109
	v_fmac_f32_e32 v43, 0x3f167918, v91
	v_add_f32_e32 v93, v106, v107
	v_fmac_f32_e32 v6, 0xbf737871, v91
	v_add_f32_e32 v91, v92, v106
	v_fmac_f32_e32 v45, 0x3e9e377a, v89
	v_add_f32_e32 v47, v44, v47
	v_fma_f32 v44, -0.5, v93, v7
	v_sub_f32_e32 v93, v99, v109
	v_fmac_f32_e32 v43, 0x3e9e377a, v89
	v_add_f32_e32 v89, v91, v107
	v_add_f32_e32 v91, v105, v112
	v_fmac_f32_e32 v90, 0xbf167918, v46
	v_fmac_f32_e32 v6, 0x3f167918, v46
	v_fmamk_f32 v46, v93, 0x3f737871, v44
	v_sub_f32_e32 v35, v108, v35
	v_sub_f32_e32 v92, v105, v106
	;; [unrolled: 1-line block ×3, first 2 shown]
	v_fmac_f32_e32 v7, -0.5, v91
	v_fmac_f32_e32 v44, 0xbf737871, v93
	v_fmac_f32_e32 v90, 0x3e9e377a, v47
	;; [unrolled: 1-line block ×4, first 2 shown]
	v_add_f32_e32 v47, v92, v94
	v_fmamk_f32 v91, v35, 0xbf737871, v7
	v_sub_f32_e32 v92, v106, v105
	v_sub_f32_e32 v94, v107, v112
	v_fmac_f32_e32 v44, 0xbf167918, v35
	v_add_f32_e32 v95, v25, v24
	v_fmac_f32_e32 v7, 0x3f737871, v35
	v_add_f32_e32 v35, v0, v28
	v_add_f32_e32 v96, v92, v94
	v_fmac_f32_e32 v46, 0x3e9e377a, v47
	v_fma_f32 v92, -0.5, v95, v0
	v_sub_f32_e32 v95, v18, v21
	v_add_f32_e32 v35, v35, v25
	v_fmac_f32_e32 v91, 0x3f167918, v93
	v_fmac_f32_e32 v44, 0x3e9e377a, v47
	;; [unrolled: 1-line block ×3, first 2 shown]
	v_fmamk_f32 v94, v95, 0xbf737871, v92
	v_sub_f32_e32 v47, v19, v20
	v_sub_f32_e32 v93, v28, v25
	;; [unrolled: 1-line block ×3, first 2 shown]
	v_fmac_f32_e32 v92, 0x3f737871, v95
	v_add_f32_e32 v98, v28, v110
	v_add_f32_e32 v35, v35, v24
	v_fmac_f32_e32 v91, 0x3e9e377a, v96
	v_fmac_f32_e32 v94, 0xbf167918, v47
	v_add_f32_e32 v93, v93, v97
	v_fmac_f32_e32 v92, 0x3f167918, v47
	v_fma_f32 v0, -0.5, v98, v0
	v_fmac_f32_e32 v7, 0x3e9e377a, v96
	v_add_f32_e32 v96, v35, v110
	v_add_f32_e32 v35, v19, v20
	v_sub_f32_e32 v97, v25, v28
	v_sub_f32_e32 v99, v24, v110
	v_fmac_f32_e32 v94, 0x3e9e377a, v93
	v_fmac_f32_e32 v92, 0x3e9e377a, v93
	v_fmamk_f32 v98, v47, 0x3f737871, v0
	v_fmac_f32_e32 v0, 0xbf737871, v47
	v_add_f32_e32 v47, v1, v18
	v_fma_f32 v93, -0.5, v35, v1
	v_add_f32_e32 v35, v97, v99
	v_add_f32_e32 v97, v18, v21
	v_sub_f32_e32 v28, v28, v110
	v_fmac_f32_e32 v98, 0xbf167918, v95
	v_fmac_f32_e32 v0, 0x3f167918, v95
	v_add_f32_e32 v47, v47, v19
	v_sub_f32_e32 v24, v25, v24
	v_fmac_f32_e32 v1, -0.5, v97
	v_fmamk_f32 v95, v28, 0x3f737871, v93
	v_fmac_f32_e32 v98, 0x3e9e377a, v35
	v_fmac_f32_e32 v0, 0x3e9e377a, v35
	v_add_f32_e32 v25, v47, v20
	v_sub_f32_e32 v35, v18, v19
	v_sub_f32_e32 v47, v21, v20
	v_fmamk_f32 v99, v24, 0xbf737871, v1
	v_sub_f32_e32 v18, v19, v18
	v_sub_f32_e32 v19, v20, v21
	v_fmac_f32_e32 v1, 0x3f737871, v24
	v_fmac_f32_e32 v93, 0xbf737871, v28
	v_add_f32_e32 v30, v30, v102
	v_fmac_f32_e32 v95, 0x3f167918, v24
	v_add_f32_e32 v20, v35, v47
	v_add_f32_e32 v18, v18, v19
	v_fmac_f32_e32 v1, 0xbf167918, v28
	v_fmac_f32_e32 v93, 0xbf167918, v24
	v_fmac_f32_e32 v99, 0x3f167918, v28
	v_add_f32_e32 v40, v40, v104
	v_add_f32_e32 v89, v89, v112
	ds_write2_b64 v180, v[16:17], v[12:13] offset1:17
	ds_write2_b64 v180, v[14:15], v[8:9] offset0:34 offset1:51
	ds_write2_b64 v180, v[2:3], v[29:30] offset0:68 offset1:85
	;; [unrolled: 1-line block ×5, first 2 shown]
	v_add_nc_u32_e32 v2, 0x400, v187
	v_add_nc_u32_e32 v3, 0x800, v187
	v_add_f32_e32 v97, v25, v21
	v_fmac_f32_e32 v95, 0x3e9e377a, v20
	v_fmac_f32_e32 v1, 0x3e9e377a, v18
	ds_write2_b64 v188, v[41:42], v[4:5] offset0:204 offset1:221
	v_add_nc_u32_e32 v4, 0x800, v186
	v_fmac_f32_e32 v93, 0x3e9e377a, v20
	v_fmac_f32_e32 v99, 0x3e9e377a, v18
	ds_write_b64 v188, v[33:34] offset:1904
	ds_write2_b64 v2, v[88:89], v[45:46] offset0:127 offset1:144
	ds_write2_b64 v3, v[90:91], v[6:7] offset0:33 offset1:50
	ds_write_b64 v187, v[43:44] offset:2584
	ds_write2_b64 v4, v[96:97], v[94:95] offset0:84 offset1:101
	ds_write2_b64 v4, v[98:99], v[0:1] offset0:118 offset1:135
	ds_write_b64 v186, v[92:93] offset:3264
	s_waitcnt lgkmcnt(0)
	s_barrier
	buffer_gl0_inv
	ds_read2_b64 v[0:3], v180 offset0:68 offset1:85
	ds_read2_b64 v[12:15], v180 offset0:170 offset1:187
	;; [unrolled: 1-line block ×3, first 2 shown]
	ds_read2_b64 v[8:11], v180 offset1:17
	ds_read2_b64 v[20:23], v36 offset0:84 offset1:101
	ds_read2_b64 v[24:27], v180 offset0:102 offset1:119
	;; [unrolled: 1-line block ×8, first 2 shown]
	ds_read_b64 v[45:46], v180 offset:3264
	s_waitcnt lgkmcnt(12)
	v_mul_f32_e32 v47, v73, v3
	s_waitcnt lgkmcnt(10)
	v_mul_f32_e32 v92, v81, v19
	v_mul_f32_e32 v81, v81, v18
	v_fmac_f32_e32 v47, v72, v2
	v_mul_f32_e32 v2, v73, v2
	v_mul_f32_e32 v73, v75, v13
	;; [unrolled: 1-line block ×3, first 2 shown]
	v_fmac_f32_e32 v92, v80, v18
	v_fma_f32 v72, v72, v3, -v2
	v_fmac_f32_e32 v73, v74, v12
	v_fma_f32 v74, v74, v13, -v75
	v_fma_f32 v75, v80, v19, -v81
	s_waitcnt lgkmcnt(8)
	v_mul_f32_e32 v2, v83, v20
	s_waitcnt lgkmcnt(7)
	v_mul_f32_e32 v80, v57, v25
	v_mul_f32_e32 v3, v57, v24
	;; [unrolled: 1-line block ×4, first 2 shown]
	v_fma_f32 v81, v82, v21, -v2
	v_fmac_f32_e32 v80, v56, v24
	v_fma_f32 v56, v56, v25, -v3
	v_mul_f32_e32 v2, v59, v14
	s_waitcnt lgkmcnt(6)
	v_mul_f32_e32 v3, v85, v28
	v_fmac_f32_e32 v57, v58, v14
	v_mul_f32_e32 v59, v85, v29
	v_mul_f32_e32 v85, v69, v27
	v_fma_f32 v58, v58, v15, -v2
	v_fma_f32 v83, v84, v29, -v3
	v_mul_f32_e32 v2, v69, v26
	s_waitcnt lgkmcnt(4)
	v_mul_f32_e32 v69, v71, v33
	v_mul_f32_e32 v3, v71, v32
	;; [unrolled: 1-line block ×4, first 2 shown]
	v_fmac_f32_e32 v85, v68, v26
	v_fma_f32 v68, v68, v27, -v2
	v_fmac_f32_e32 v69, v70, v32
	v_fma_f32 v70, v70, v33, -v3
	v_mul_f32_e32 v2, v77, v30
	s_waitcnt lgkmcnt(3)
	v_mul_f32_e32 v77, v79, v38
	v_mul_f32_e32 v3, v79, v37
	v_fmac_f32_e32 v59, v84, v28
	v_fma_f32 v84, v86, v23, -v12
	v_fmac_f32_e32 v71, v76, v30
	s_waitcnt lgkmcnt(2)
	v_mul_f32_e32 v79, v53, v42
	v_mul_f32_e32 v12, v53, v41
	v_fma_f32 v53, v76, v31, -v2
	v_fmac_f32_e32 v77, v78, v37
	v_fma_f32 v76, v78, v38, -v3
	v_mul_f32_e32 v78, v55, v35
	v_mul_f32_e32 v2, v55, v34
	s_waitcnt lgkmcnt(1)
	v_mul_f32_e32 v3, v65, v88
	v_fmac_f32_e32 v79, v52, v41
	v_fma_f32 v52, v52, v42, -v12
	v_fmac_f32_e32 v78, v54, v34
	v_fma_f32 v35, v54, v35, -v2
	v_fma_f32 v54, v64, v89, -v3
	v_mul_f32_e32 v2, v67, v39
	v_mul_f32_e32 v3, v61, v43
	;; [unrolled: 1-line block ×3, first 2 shown]
	v_fmac_f32_e32 v13, v82, v20
	v_mul_f32_e32 v82, v87, v23
	v_mul_f32_e32 v21, v61, v44
	v_fma_f32 v61, v66, v40, -v2
	v_fma_f32 v18, v60, v44, -v3
	;; [unrolled: 1-line block ×3, first 2 shown]
	v_add_f32_e32 v2, v73, v92
	v_mul_f32_e32 v3, v49, v90
	v_add_f32_e32 v12, v8, v47
	v_fmac_f32_e32 v82, v86, v22
	v_mul_f32_e32 v20, v63, v17
	v_fma_f32 v2, -0.5, v2, v8
	v_sub_f32_e32 v15, v72, v81
	v_fma_f32 v22, v48, v91, -v3
	v_add_f32_e32 v3, v12, v73
	v_add_f32_e32 v24, v47, v13
	v_fmac_f32_e32 v20, v62, v16
	v_fmamk_f32 v12, v15, 0xbf737871, v2
	v_sub_f32_e32 v17, v74, v75
	v_sub_f32_e32 v14, v47, v73
	;; [unrolled: 1-line block ×3, first 2 shown]
	s_waitcnt lgkmcnt(0)
	v_mul_f32_e32 v25, v51, v45
	v_add_f32_e32 v3, v3, v92
	v_fma_f32 v8, -0.5, v24, v8
	v_fmac_f32_e32 v2, 0x3f737871, v15
	v_add_f32_e32 v27, v9, v72
	v_fmac_f32_e32 v12, 0xbf167918, v17
	v_add_f32_e32 v26, v14, v16
	v_fma_f32 v24, v50, v46, -v25
	v_add_f32_e32 v16, v3, v13
	v_fmamk_f32 v14, v17, 0x3f737871, v8
	v_sub_f32_e32 v3, v73, v47
	v_sub_f32_e32 v25, v92, v13
	v_fmac_f32_e32 v2, 0x3f167918, v17
	v_add_f32_e32 v28, v74, v75
	v_fmac_f32_e32 v8, 0xbf737871, v17
	v_add_f32_e32 v17, v27, v74
	;; [unrolled: 2-line block ×3, first 2 shown]
	v_fma_f32 v3, -0.5, v28, v9
	v_sub_f32_e32 v28, v47, v13
	v_fmac_f32_e32 v8, 0x3f167918, v15
	v_add_f32_e32 v15, v17, v75
	v_add_f32_e32 v17, v72, v81
	v_fmac_f32_e32 v12, 0x3e9e377a, v26
	v_fmac_f32_e32 v2, 0x3e9e377a, v26
	v_fmamk_f32 v13, v28, 0x3f737871, v3
	v_sub_f32_e32 v26, v73, v92
	v_sub_f32_e32 v27, v72, v74
	;; [unrolled: 1-line block ×3, first 2 shown]
	v_fma_f32 v9, -0.5, v17, v9
	v_fmac_f32_e32 v3, 0xbf737871, v28
	v_add_f32_e32 v31, v10, v80
	v_fmac_f32_e32 v14, 0x3e9e377a, v25
	v_fmac_f32_e32 v8, 0x3e9e377a, v25
	v_add_f32_e32 v17, v15, v81
	v_fmac_f32_e32 v13, 0x3f167918, v26
	v_add_f32_e32 v27, v27, v29
	v_fmamk_f32 v15, v26, 0xbf737871, v9
	v_sub_f32_e32 v25, v74, v72
	v_sub_f32_e32 v29, v75, v81
	v_add_f32_e32 v30, v57, v59
	v_fmac_f32_e32 v3, 0xbf167918, v26
	v_fmac_f32_e32 v9, 0x3f737871, v26
	v_add_f32_e32 v26, v31, v57
	v_fmac_f32_e32 v15, 0x3f167918, v28
	v_add_f32_e32 v29, v25, v29
	v_fma_f32 v25, -0.5, v30, v10
	v_sub_f32_e32 v30, v56, v84
	v_sub_f32_e32 v31, v80, v57
	;; [unrolled: 1-line block ×3, first 2 shown]
	v_add_f32_e32 v34, v80, v82
	v_fmac_f32_e32 v9, 0xbf167918, v28
	v_add_f32_e32 v26, v26, v59
	v_fmac_f32_e32 v13, 0x3e9e377a, v27
	v_fmac_f32_e32 v3, 0x3e9e377a, v27
	;; [unrolled: 1-line block ×3, first 2 shown]
	v_fmamk_f32 v27, v30, 0xbf737871, v25
	v_sub_f32_e32 v32, v58, v83
	v_add_f32_e32 v28, v31, v33
	v_fma_f32 v10, -0.5, v34, v10
	v_fmac_f32_e32 v9, 0x3e9e377a, v29
	v_add_f32_e32 v29, v26, v82
	v_fmac_f32_e32 v25, 0x3f737871, v30
	v_sub_f32_e32 v26, v57, v80
	v_sub_f32_e32 v33, v59, v82
	v_add_f32_e32 v34, v11, v56
	v_add_f32_e32 v37, v58, v83
	v_mul_f32_e32 v55, v65, v89
	v_mul_f32_e32 v65, v67, v40
	v_fmac_f32_e32 v27, 0xbf167918, v32
	v_fmamk_f32 v31, v32, 0x3f737871, v10
	v_fmac_f32_e32 v25, 0x3f167918, v32
	v_add_f32_e32 v33, v26, v33
	v_fmac_f32_e32 v10, 0xbf737871, v32
	v_add_f32_e32 v32, v34, v58
	v_fma_f32 v26, -0.5, v37, v11
	v_sub_f32_e32 v34, v80, v82
	v_fmac_f32_e32 v65, v66, v39
	v_fmac_f32_e32 v27, 0x3e9e377a, v28
	;; [unrolled: 1-line block ×5, first 2 shown]
	v_add_f32_e32 v30, v32, v83
	v_fmamk_f32 v28, v34, 0x3f737871, v26
	v_add_f32_e32 v32, v56, v84
	v_sub_f32_e32 v37, v57, v59
	v_sub_f32_e32 v38, v56, v58
	v_sub_f32_e32 v39, v84, v83
	v_fmac_f32_e32 v26, 0xbf737871, v34
	v_fmac_f32_e32 v11, -0.5, v32
	v_fmac_f32_e32 v28, 0x3f167918, v37
	v_add_f32_e32 v41, v4, v85
	v_add_f32_e32 v38, v38, v39
	v_fmac_f32_e32 v26, 0xbf167918, v37
	v_fmac_f32_e32 v31, 0x3e9e377a, v33
	;; [unrolled: 1-line block ×3, first 2 shown]
	v_fmamk_f32 v32, v37, 0xbf737871, v11
	v_sub_f32_e32 v33, v58, v56
	v_sub_f32_e32 v39, v83, v84
	v_fmac_f32_e32 v28, 0x3e9e377a, v38
	v_add_f32_e32 v40, v69, v71
	v_fmac_f32_e32 v26, 0x3e9e377a, v38
	v_fmac_f32_e32 v11, 0x3f737871, v37
	v_add_f32_e32 v38, v41, v69
	v_fmac_f32_e32 v21, v60, v43
	v_mul_f32_e32 v60, v51, v46
	v_fmac_f32_e32 v32, 0x3f167918, v34
	v_add_f32_e32 v39, v33, v39
	v_fma_f32 v33, -0.5, v40, v4
	v_sub_f32_e32 v40, v68, v76
	v_sub_f32_e32 v41, v85, v69
	;; [unrolled: 1-line block ×3, first 2 shown]
	v_add_f32_e32 v44, v85, v77
	v_fmac_f32_e32 v11, 0xbf167918, v34
	v_add_f32_e32 v34, v38, v71
	v_fmac_f32_e32 v60, v50, v45
	v_fmac_f32_e32 v32, 0x3e9e377a, v39
	v_fmamk_f32 v37, v40, 0xbf737871, v33
	v_sub_f32_e32 v42, v70, v53
	v_add_f32_e32 v38, v41, v43
	v_fma_f32 v4, -0.5, v44, v4
	v_fmac_f32_e32 v11, 0x3e9e377a, v39
	v_add_f32_e32 v39, v34, v77
	v_fmac_f32_e32 v33, 0x3f737871, v40
	v_sub_f32_e32 v34, v69, v85
	v_sub_f32_e32 v43, v71, v77
	v_add_f32_e32 v44, v5, v68
	v_add_f32_e32 v45, v70, v53
	v_fmac_f32_e32 v37, 0xbf167918, v42
	v_fmamk_f32 v41, v42, 0x3f737871, v4
	v_fmac_f32_e32 v33, 0x3f167918, v42
	v_add_f32_e32 v43, v34, v43
	v_fmac_f32_e32 v4, 0xbf737871, v42
	v_add_f32_e32 v42, v44, v70
	v_fma_f32 v34, -0.5, v45, v5
	v_sub_f32_e32 v44, v85, v77
	v_fmac_f32_e32 v55, v64, v88
	v_mul_f32_e32 v23, v49, v91
	v_fmac_f32_e32 v37, 0x3e9e377a, v38
	v_fmac_f32_e32 v41, 0xbf167918, v40
	;; [unrolled: 1-line block ×4, first 2 shown]
	v_add_f32_e32 v40, v42, v53
	v_fmamk_f32 v38, v44, 0x3f737871, v34
	v_add_f32_e32 v42, v68, v76
	v_sub_f32_e32 v45, v69, v71
	v_sub_f32_e32 v46, v68, v70
	;; [unrolled: 1-line block ×3, first 2 shown]
	v_fmac_f32_e32 v34, 0xbf737871, v44
	v_fmac_f32_e32 v23, v48, v90
	;; [unrolled: 1-line block ×4, first 2 shown]
	v_fma_f32 v5, -0.5, v42, v5
	v_fmac_f32_e32 v38, 0x3f167918, v45
	v_add_f32_e32 v46, v46, v47
	v_sub_f32_e32 v43, v70, v68
	v_sub_f32_e32 v47, v53, v76
	v_add_f32_e32 v48, v78, v55
	v_fmac_f32_e32 v34, 0xbf167918, v45
	v_add_f32_e32 v49, v6, v79
	v_fmamk_f32 v42, v45, 0xbf737871, v5
	v_fmac_f32_e32 v38, 0x3e9e377a, v46
	v_add_f32_e32 v47, v43, v47
	v_fma_f32 v43, -0.5, v48, v6
	v_sub_f32_e32 v48, v52, v61
	v_fmac_f32_e32 v34, 0x3e9e377a, v46
	v_fmac_f32_e32 v5, 0x3f737871, v45
	v_add_f32_e32 v46, v49, v78
	v_add_f32_e32 v53, v79, v65
	v_fmac_f32_e32 v42, 0x3f167918, v44
	v_fmamk_f32 v45, v48, 0xbf737871, v43
	v_sub_f32_e32 v50, v35, v54
	v_sub_f32_e32 v49, v79, v78
	;; [unrolled: 1-line block ×3, first 2 shown]
	v_fmac_f32_e32 v5, 0xbf167918, v44
	v_add_f32_e32 v44, v46, v55
	v_fma_f32 v6, -0.5, v53, v6
	v_fmac_f32_e32 v43, 0x3f737871, v48
	v_add_f32_e32 v53, v7, v52
	v_fmac_f32_e32 v42, 0x3e9e377a, v47
	v_fmac_f32_e32 v45, 0xbf167918, v50
	v_add_f32_e32 v46, v49, v51
	v_fmac_f32_e32 v5, 0x3e9e377a, v47
	v_add_f32_e32 v47, v44, v65
	v_fmamk_f32 v49, v50, 0x3f737871, v6
	v_sub_f32_e32 v44, v78, v79
	v_sub_f32_e32 v51, v55, v65
	v_fmac_f32_e32 v43, 0x3f167918, v50
	v_add_f32_e32 v56, v35, v54
	v_fmac_f32_e32 v6, 0xbf737871, v50
	v_add_f32_e32 v50, v53, v35
	;; [unrolled: 2-line block ×3, first 2 shown]
	v_fma_f32 v44, -0.5, v56, v7
	v_sub_f32_e32 v53, v79, v65
	v_fmac_f32_e32 v6, 0x3f167918, v48
	v_add_f32_e32 v48, v50, v54
	v_add_f32_e32 v50, v52, v61
	v_fmac_f32_e32 v45, 0x3e9e377a, v46
	v_fmac_f32_e32 v43, 0x3e9e377a, v46
	;; [unrolled: 1-line block ×3, first 2 shown]
	v_fmamk_f32 v46, v53, 0x3f737871, v44
	v_sub_f32_e32 v55, v78, v55
	v_sub_f32_e32 v56, v52, v35
	;; [unrolled: 1-line block ×3, first 2 shown]
	v_fmac_f32_e32 v6, 0x3e9e377a, v51
	v_fmac_f32_e32 v7, -0.5, v50
	v_fmac_f32_e32 v44, 0xbf737871, v53
	v_sub_f32_e32 v35, v35, v52
	v_sub_f32_e32 v51, v54, v61
	v_add_f32_e32 v52, v20, v23
	v_fmac_f32_e32 v46, 0x3f167918, v55
	v_add_f32_e32 v56, v56, v57
	v_fmamk_f32 v50, v55, 0xbf737871, v7
	v_fmac_f32_e32 v44, 0xbf167918, v55
	v_add_f32_e32 v35, v35, v51
	v_fmac_f32_e32 v7, 0x3f737871, v55
	v_add_f32_e32 v54, v0, v21
	v_fma_f32 v51, -0.5, v52, v0
	v_sub_f32_e32 v58, v18, v24
	v_add_f32_e32 v57, v21, v60
	v_fmac_f32_e32 v46, 0x3e9e377a, v56
	v_fmac_f32_e32 v50, 0x3f167918, v53
	;; [unrolled: 1-line block ×4, first 2 shown]
	v_add_f32_e32 v52, v54, v20
	v_fmamk_f32 v53, v58, 0xbf737871, v51
	v_sub_f32_e32 v54, v19, v22
	v_sub_f32_e32 v55, v21, v20
	;; [unrolled: 1-line block ×3, first 2 shown]
	v_fmac_f32_e32 v51, 0x3f737871, v58
	v_fma_f32 v0, -0.5, v57, v0
	v_fmac_f32_e32 v53, 0xbf167918, v54
	v_fmac_f32_e32 v50, 0x3e9e377a, v35
	v_add_f32_e32 v56, v55, v56
	v_fmac_f32_e32 v51, 0x3f167918, v54
	v_fmamk_f32 v57, v54, 0x3f737871, v0
	v_fmac_f32_e32 v0, 0xbf737871, v54
	v_add_f32_e32 v52, v52, v23
	v_fmac_f32_e32 v7, 0x3e9e377a, v35
	v_fmac_f32_e32 v53, 0x3e9e377a, v56
	;; [unrolled: 1-line block ×3, first 2 shown]
	v_add_f32_e32 v35, v19, v22
	v_sub_f32_e32 v56, v20, v21
	v_sub_f32_e32 v59, v23, v60
	v_fmac_f32_e32 v57, 0xbf167918, v58
	v_fmac_f32_e32 v0, 0x3f167918, v58
	v_add_f32_e32 v58, v18, v24
	v_add_f32_e32 v55, v52, v60
	;; [unrolled: 1-line block ×3, first 2 shown]
	v_fma_f32 v52, -0.5, v35, v1
	v_add_f32_e32 v35, v56, v59
	v_sub_f32_e32 v20, v20, v23
	v_fmac_f32_e32 v1, -0.5, v58
	v_sub_f32_e32 v21, v21, v60
	v_add_f32_e32 v56, v54, v19
	v_fmac_f32_e32 v57, 0x3e9e377a, v35
	v_fmac_f32_e32 v0, 0x3e9e377a, v35
	v_sub_f32_e32 v35, v18, v19
	v_fmamk_f32 v58, v20, 0xbf737871, v1
	v_sub_f32_e32 v18, v19, v18
	v_sub_f32_e32 v19, v22, v24
	v_fmac_f32_e32 v1, 0x3f737871, v20
	v_fmamk_f32 v54, v21, 0x3f737871, v52
	v_fmac_f32_e32 v58, 0x3f167918, v21
	v_add_f32_e32 v23, v56, v22
	v_add_f32_e32 v18, v18, v19
	v_fmac_f32_e32 v1, 0xbf167918, v21
	v_sub_f32_e32 v56, v24, v22
	v_fmac_f32_e32 v52, 0xbf737871, v21
	ds_write_b64 v180, v[16:17]
	v_add_nc_u32_e32 v16, 0x800, v184
	v_add_f32_e32 v30, v30, v84
	v_add_f32_e32 v40, v40, v76
	v_fmac_f32_e32 v58, 0x3e9e377a, v18
	v_fmac_f32_e32 v1, 0x3e9e377a, v18
	v_add_nc_u32_e32 v18, 0x400, v184
	v_fmac_f32_e32 v54, 0x3f167918, v20
	v_add_f32_e32 v22, v35, v56
	v_fmac_f32_e32 v52, 0xbf167918, v20
	ds_write2_b64 v184, v[12:13], v[27:28] offset0:85 offset1:102
	ds_write2_b64 v184, v[14:15], v[31:32] offset0:170 offset1:187
	;; [unrolled: 1-line block ×3, first 2 shown]
	v_add_nc_u32_e32 v8, 0x400, v191
	v_add_f32_e32 v48, v48, v61
	ds_write2_b64 v16, v[2:3], v[25:26] offset0:84 offset1:101
	ds_write2_b64 v184, v[29:30], v[39:40] offset0:17 offset1:34
	;; [unrolled: 1-line block ×3, first 2 shown]
	v_add_nc_u32_e32 v2, 0x400, v185
	v_add_f32_e32 v56, v23, v24
	v_fmac_f32_e32 v54, 0x3e9e377a, v22
	v_fmac_f32_e32 v52, 0x3e9e377a, v22
	v_add_nc_u32_e32 v3, 0x400, v190
	ds_write2_b64 v8, v[4:5], v[33:34] offset0:127 offset1:212
	ds_write_b64 v184, v[47:48] offset:408
	ds_write2_b64 v185, v[45:46], v[49:50] offset0:85 offset1:170
	ds_write2_b64 v2, v[6:7], v[43:44] offset0:127 offset1:212
	ds_write_b64 v184, v[55:56] offset:544
	ds_write2_b64 v190, v[53:54], v[57:58] offset0:85 offset1:170
	ds_write2_b64 v3, v[0:1], v[51:52] offset0:127 offset1:212
	s_waitcnt lgkmcnt(0)
	s_barrier
	buffer_gl0_inv
	ds_read2_b64 v[0:3], v180 offset1:25
	s_clause 0x3
	buffer_load_dword v6, off, s[20:23], 0 offset:8
	buffer_load_dword v7, off, s[20:23], 0 offset:12
	buffer_load_dword v16, off, s[20:23], 0
	buffer_load_dword v17, off, s[20:23], 0 offset:4
	v_mad_u64_u32 v[8:9], null, s10, v160, 0
	v_mad_u64_u32 v[14:15], null, s8, v167, 0
	s_waitcnt vmcnt(2) lgkmcnt(0)
	v_mul_f32_e32 v4, v7, v1
	v_mul_f32_e32 v5, v7, v0
	v_fmac_f32_e32 v4, v6, v0
	v_fma_f32 v5, v6, v1, -v5
	s_waitcnt vmcnt(0)
	v_mul_f32_e32 v6, v17, v3
	v_cvt_f64_f32_e32 v[0:1], v4
	v_cvt_f64_f32_e32 v[4:5], v5
	v_fmac_f32_e32 v6, v16, v2
	v_mul_f64 v[10:11], v[0:1], s[2:3]
	v_mul_f32_e32 v0, v17, v2
	v_mul_f64 v[12:13], v[4:5], s[2:3]
	v_mov_b32_e32 v4, v9
	v_fma_f32 v5, v16, v3, -v0
	ds_read2_b64 v[0:3], v180 offset0:50 offset1:75
	v_cvt_f64_f32_e32 v[16:17], v6
	v_cvt_f64_f32_e32 v[18:19], v5
	v_mov_b32_e32 v5, v15
	v_mad_u64_u32 v[20:21], null, s11, v160, v[4:5]
	v_mad_u64_u32 v[21:22], null, s9, v167, v[5:6]
	ds_read2_b64 v[4:7], v180 offset0:100 offset1:125
	v_mov_b32_e32 v9, v20
	v_cvt_f32_f64_e32 v20, v[10:11]
	s_waitcnt lgkmcnt(1)
	v_mul_f32_e32 v11, v171, v3
	v_mul_f32_e32 v22, v171, v2
	;; [unrolled: 1-line block ×3, first 2 shown]
	v_mov_b32_e32 v15, v21
	v_lshlrev_b64 v[8:9], 3, v[8:9]
	v_fmac_f32_e32 v11, v170, v2
	v_fma_f32 v2, v170, v3, -v22
	v_fmac_f32_e32 v10, v168, v0
	v_cvt_f32_f64_e32 v21, v[12:13]
	v_lshlrev_b64 v[12:13], 3, v[14:15]
	v_mul_f64 v[14:15], v[16:17], s[2:3]
	v_mul_f64 v[16:17], v[18:19], s[2:3]
	v_cvt_f64_f32_e32 v[18:19], v10
	v_cvt_f64_f32_e32 v[22:23], v11
	s_waitcnt lgkmcnt(0)
	v_mul_f32_e32 v26, v173, v5
	v_mul_f32_e32 v3, v173, v4
	v_mul_f32_e32 v0, v169, v0
	v_cvt_f64_f32_e32 v[24:25], v2
	v_add_co_u32 v2, s0, s14, v8
	v_fmac_f32_e32 v26, v172, v4
	v_fma_f32 v4, v172, v5, -v3
	v_add_co_ci_u32_e64 v3, s0, s15, v9, s0
	ds_read2_b64 v[8:11], v180 offset0:150 offset1:175
	v_cvt_f64_f32_e32 v[26:27], v26
	v_cvt_f64_f32_e32 v[4:5], v4
	v_fma_f32 v0, v168, v1, -v0
	v_add_co_u32 v12, s0, v2, v12
	v_add_co_ci_u32_e64 v13, s0, v3, v13, s0
	v_cvt_f64_f32_e32 v[0:1], v0
	v_cvt_f32_f64_e32 v14, v[14:15]
	v_cvt_f32_f64_e32 v15, v[16:17]
	v_mul_f64 v[16:17], v[18:19], s[2:3]
	v_mul_f64 v[18:19], v[22:23], s[2:3]
	global_store_dwordx2 v[12:13], v[20:21], off
	s_mul_i32 s0, s9, 25
	v_mul_f64 v[20:21], v[24:25], s[2:3]
	s_add_i32 s1, s1, s0
	s_mul_i32 s0, s8, 25
	s_lshl_b64 s[4:5], s[0:1], 3
	s_waitcnt lgkmcnt(0)
	v_mul_f32_e32 v28, v166, v9
	v_mul_f32_e32 v32, v159, v11
	;; [unrolled: 1-line block ×3, first 2 shown]
	v_mul_f64 v[22:23], v[26:27], s[2:3]
	v_mul_f32_e32 v26, v164, v7
	v_mul_f32_e32 v27, v164, v6
	v_mul_f64 v[24:25], v[4:5], s[2:3]
	v_mul_f32_e32 v4, v166, v8
	v_fmac_f32_e32 v28, v165, v8
	v_fmac_f32_e32 v26, v163, v6
	v_fma_f32 v5, v163, v7, -v27
	v_mul_f64 v[0:1], v[0:1], s[2:3]
	v_fma_f32 v4, v165, v9, -v4
	v_cvt_f64_f32_e32 v[28:29], v28
	v_cvt_f64_f32_e32 v[8:9], v26
	;; [unrolled: 1-line block ×3, first 2 shown]
	v_cvt_f32_f64_e32 v18, v[18:19]
	v_cvt_f64_f32_e32 v[30:31], v4
	ds_read2_b64 v[4:7], v180 offset0:200 offset1:225
	v_cvt_f32_f64_e32 v19, v[20:21]
	v_fmac_f32_e32 v32, v158, v10
	v_cvt_f32_f64_e32 v16, v[16:17]
	v_add_co_u32 v12, s0, v12, s4
	v_add_co_ci_u32_e64 v13, s0, s5, v13, s0
	v_cvt_f32_f64_e32 v20, v[22:23]
	v_cvt_f32_f64_e32 v21, v[24:25]
	;; [unrolled: 1-line block ×3, first 2 shown]
	v_add_co_u32 v0, s0, v12, s4
	v_mul_f64 v[22:23], v[8:9], s[2:3]
	v_mul_f64 v[24:25], v[26:27], s[2:3]
	s_waitcnt lgkmcnt(0)
	v_mul_f32_e32 v9, v162, v5
	v_mul_f32_e32 v10, v162, v4
	v_fma_f32 v8, v158, v11, -v33
	v_add_co_ci_u32_e64 v1, s0, s5, v13, s0
	v_fmac_f32_e32 v9, v161, v4
	v_fma_f32 v4, v161, v5, -v10
	v_mul_f64 v[26:27], v[28:29], s[2:3]
	v_mul_f64 v[28:29], v[30:31], s[2:3]
	v_add_co_u32 v34, s0, v0, s4
	v_cvt_f64_f32_e32 v[39:40], v4
	v_add_nc_u32_e32 v4, 0x400, v180
	v_cvt_f64_f32_e32 v[30:31], v32
	v_cvt_f64_f32_e32 v[32:33], v8
	;; [unrolled: 1-line block ×3, first 2 shown]
	v_add_co_ci_u32_e64 v35, s0, s5, v1, s0
	ds_read2_b64 v[8:11], v4 offset0:122 offset1:147
	v_add_co_u32 v41, s0, v34, s4
	v_add_co_ci_u32_e64 v42, s0, s5, v35, s0
	global_store_dwordx2 v[12:13], v[14:15], off
	global_store_dwordx2 v[0:1], v[16:17], off
	;; [unrolled: 1-line block ×4, first 2 shown]
	v_cvt_f32_f64_e32 v0, v[22:23]
	v_cvt_f32_f64_e32 v1, v[24:25]
	v_mul_f32_e32 v5, v155, v7
	v_add_co_u32 v18, s0, v41, s4
	v_cvt_f32_f64_e32 v12, v[26:27]
	v_cvt_f32_f64_e32 v13, v[28:29]
	v_fmac_f32_e32 v5, v154, v6
	v_add_co_ci_u32_e64 v19, s0, s5, v42, s0
	v_add_co_u32 v24, s0, v18, s4
	v_mul_f64 v[14:15], v[30:31], s[2:3]
	v_cvt_f64_f32_e32 v[26:27], v5
	s_waitcnt lgkmcnt(0)
	v_mul_f32_e32 v28, v157, v9
	v_mul_f32_e32 v29, v157, v8
	;; [unrolled: 1-line block ×3, first 2 shown]
	v_add_co_ci_u32_e64 v25, s0, s5, v19, s0
	v_fmac_f32_e32 v28, v156, v8
	v_fma_f32 v5, v156, v9, -v29
	v_fma_f32 v6, v154, v7, -v6
	v_mul_f64 v[16:17], v[32:33], s[2:3]
	global_store_dwordx2 v[18:19], v[0:1], off
	v_cvt_f64_f32_e32 v[18:19], v28
	v_cvt_f64_f32_e32 v[28:29], v5
	;; [unrolled: 1-line block ×3, first 2 shown]
	ds_read2_b64 v[5:8], v36 offset0:44 offset1:69
	global_store_dwordx2 v[24:25], v[12:13], off
	v_mul_f32_e32 v32, v148, v11
	v_mul_f32_e32 v9, v148, v10
	v_mul_f64 v[20:21], v[37:38], s[2:3]
	v_mul_f64 v[22:23], v[39:40], s[2:3]
	v_cvt_f32_f64_e32 v30, v[14:15]
	ds_read2_b64 v[12:15], v36 offset0:94 offset1:119
	v_fmac_f32_e32 v32, v147, v10
	v_fma_f32 v11, v147, v11, -v9
	v_cvt_f32_f64_e32 v31, v[16:17]
	v_add_co_u32 v16, s0, v24, s4
	v_mul_f64 v[9:10], v[18:19], s[2:3]
	v_mul_f64 v[18:19], v[28:29], s[2:3]
	ds_read_b64 v[28:29], v180 offset:3200
	v_add_co_ci_u32_e64 v17, s0, s5, v25, s0
	v_mul_f64 v[24:25], v[26:27], s[2:3]
	v_cvt_f64_f32_e32 v[26:27], v32
	v_cvt_f64_f32_e32 v[32:33], v11
	s_waitcnt lgkmcnt(2)
	v_mul_f32_e32 v11, v142, v6
	v_mul_f32_e32 v34, v142, v5
	s_waitcnt lgkmcnt(1)
	v_mul_f32_e32 v39, v144, v13
	v_mul_f32_e32 v35, v146, v8
	;; [unrolled: 1-line block ×3, first 2 shown]
	v_fmac_f32_e32 v11, v141, v5
	v_fma_f32 v34, v141, v6, -v34
	v_mul_f64 v[0:1], v[0:1], s[2:3]
	v_cvt_f32_f64_e32 v20, v[20:21]
	v_cvt_f32_f64_e32 v21, v[22:23]
	v_cvt_f64_f32_e32 v[5:6], v11
	v_mul_f32_e32 v11, v144, v12
	v_fmac_f32_e32 v39, v143, v12
	v_mul_f32_e32 v41, v151, v15
	v_mul_f32_e32 v12, v151, v14
	s_waitcnt lgkmcnt(0)
	v_mul_f32_e32 v42, v153, v29
	v_mul_f32_e32 v43, v153, v28
	v_fmac_f32_e32 v35, v145, v7
	v_fma_f32 v37, v145, v8, -v37
	v_cvt_f64_f32_e32 v[7:8], v34
	v_fma_f32 v11, v143, v13, -v11
	v_fmac_f32_e32 v41, v150, v14
	v_fma_f32 v15, v150, v15, -v12
	v_fmac_f32_e32 v42, v152, v28
	v_fma_f32 v43, v152, v29, -v43
	v_cvt_f64_f32_e32 v[34:35], v35
	v_cvt_f64_f32_e32 v[37:38], v37
	;; [unrolled: 1-line block ×8, first 2 shown]
	v_add_co_u32 v22, s0, v16, s4
	v_add_co_ci_u32_e64 v23, s0, s5, v17, s0
	global_store_dwordx2 v[16:17], v[30:31], off
	global_store_dwordx2 v[22:23], v[20:21], off
	v_cvt_f32_f64_e32 v16, v[0:1]
	v_mul_f64 v[0:1], v[26:27], s[2:3]
	v_mul_f64 v[20:21], v[32:33], s[2:3]
	;; [unrolled: 1-line block ×4, first 2 shown]
	v_cvt_f32_f64_e32 v15, v[24:25]
	v_cvt_f32_f64_e32 v9, v[9:10]
	;; [unrolled: 1-line block ×3, first 2 shown]
	v_mul_f64 v[17:18], v[34:35], s[2:3]
	v_mul_f64 v[24:25], v[37:38], s[2:3]
	;; [unrolled: 1-line block ×3, first 2 shown]
	v_add_co_u32 v22, s0, v22, s4
	v_mul_f64 v[11:12], v[11:12], s[2:3]
	v_mul_f64 v[13:14], v[13:14], s[2:3]
	;; [unrolled: 1-line block ×3, first 2 shown]
	v_add_co_ci_u32_e64 v23, s0, s5, v23, s0
	v_mul_f64 v[30:31], v[41:42], s[2:3]
	v_mul_f64 v[32:33], v[43:44], s[2:3]
	v_add_co_u32 v34, s0, v22, s4
	v_add_co_ci_u32_e64 v35, s0, s5, v23, s0
	v_cvt_f32_f64_e32 v0, v[0:1]
	v_add_co_u32 v19, s0, v34, s4
	v_cvt_f32_f64_e32 v1, v[20:21]
	v_add_co_ci_u32_e64 v20, s0, s5, v35, s0
	v_cvt_f32_f64_e32 v5, v[5:6]
	v_cvt_f32_f64_e32 v6, v[7:8]
	v_add_co_u32 v7, s0, v19, s4
	v_add_co_ci_u32_e64 v8, s0, s5, v20, s0
	v_cvt_f32_f64_e32 v17, v[17:18]
	v_cvt_f32_f64_e32 v18, v[24:25]
	;; [unrolled: 1-line block ×3, first 2 shown]
	v_add_co_u32 v26, s0, v7, s4
	v_cvt_f32_f64_e32 v25, v[11:12]
	v_add_co_ci_u32_e64 v27, s0, s5, v8, s0
	v_cvt_f32_f64_e32 v11, v[13:14]
	v_cvt_f32_f64_e32 v12, v[28:29]
	;; [unrolled: 1-line block ×4, first 2 shown]
	global_store_dwordx2 v[22:23], v[15:16], off
	v_add_co_u32 v15, s0, v26, s4
	v_add_co_ci_u32_e64 v16, s0, s5, v27, s0
	global_store_dwordx2 v[34:35], v[9:10], off
	v_add_co_u32 v9, s0, v15, s4
	v_add_co_ci_u32_e64 v10, s0, s5, v16, s0
	;; [unrolled: 3-line block ×3, first 2 shown]
	global_store_dwordx2 v[7:8], v[5:6], off
	global_store_dwordx2 v[26:27], v[17:18], off
	;; [unrolled: 1-line block ×5, first 2 shown]
	s_and_b32 exec_lo, exec_lo, vcc_lo
	s_cbranch_execz .LBB0_15
; %bb.14:
	global_load_dwordx2 v[5:6], v[138:139], off offset:136
	ds_read_b64 v[7:8], v184 offset:136
	v_mad_u64_u32 v[0:1], null, 0xfffff408, s8, v[0:1]
	s_mul_i32 s0, s9, 0xfffff408
	s_sub_i32 s0, s0, s8
	v_add_nc_u32_e32 v1, s0, v1
	s_mul_i32 s0, s9, 0x190
	s_waitcnt vmcnt(0) lgkmcnt(0)
	v_mul_f32_e32 v9, v8, v6
	v_mul_f32_e32 v6, v7, v6
	v_fmac_f32_e32 v9, v7, v5
	v_fma_f32 v7, v5, v8, -v6
	v_cvt_f64_f32_e32 v[5:6], v9
	v_cvt_f64_f32_e32 v[7:8], v7
	v_mul_f64 v[5:6], v[5:6], s[2:3]
	v_mul_f64 v[7:8], v[7:8], s[2:3]
	v_cvt_f32_f64_e32 v5, v[5:6]
	v_cvt_f32_f64_e32 v6, v[7:8]
	global_store_dwordx2 v[0:1], v[5:6], off
	global_load_dwordx2 v[9:10], v[138:139], off offset:336
	ds_read2_b64 v[5:8], v180 offset0:42 offset1:67
	v_add_co_u32 v0, vcc_lo, v0, s4
	v_add_co_ci_u32_e32 v1, vcc_lo, s5, v1, vcc_lo
	s_waitcnt vmcnt(0) lgkmcnt(0)
	v_mul_f32_e32 v11, v6, v10
	v_mul_f32_e32 v10, v5, v10
	v_fmac_f32_e32 v11, v5, v9
	v_fma_f32 v9, v9, v6, -v10
	v_cvt_f64_f32_e32 v[5:6], v11
	v_cvt_f64_f32_e32 v[9:10], v9
	v_mul_f64 v[5:6], v[5:6], s[2:3]
	v_mul_f64 v[9:10], v[9:10], s[2:3]
	v_cvt_f32_f64_e32 v5, v[5:6]
	v_cvt_f32_f64_e32 v6, v[9:10]
	global_store_dwordx2 v[0:1], v[5:6], off
	global_load_dwordx2 v[5:6], v[138:139], off offset:536
	v_add_co_u32 v0, vcc_lo, v0, s4
	v_add_co_ci_u32_e32 v1, vcc_lo, s5, v1, vcc_lo
	s_waitcnt vmcnt(0)
	v_mul_f32_e32 v9, v8, v6
	v_mul_f32_e32 v6, v7, v6
	v_fmac_f32_e32 v9, v7, v5
	v_fma_f32 v7, v5, v8, -v6
	v_cvt_f64_f32_e32 v[5:6], v9
	v_cvt_f64_f32_e32 v[7:8], v7
	v_mul_f64 v[5:6], v[5:6], s[2:3]
	v_mul_f64 v[7:8], v[7:8], s[2:3]
	v_cvt_f32_f64_e32 v5, v[5:6]
	v_cvt_f32_f64_e32 v6, v[7:8]
	global_store_dwordx2 v[0:1], v[5:6], off
	global_load_dwordx2 v[9:10], v[138:139], off offset:736
	ds_read2_b64 v[5:8], v180 offset0:92 offset1:117
	v_add_co_u32 v0, vcc_lo, v0, s4
	v_add_co_ci_u32_e32 v1, vcc_lo, s5, v1, vcc_lo
	s_waitcnt vmcnt(0) lgkmcnt(0)
	v_mul_f32_e32 v11, v6, v10
	v_mul_f32_e32 v10, v5, v10
	v_fmac_f32_e32 v11, v5, v9
	v_fma_f32 v9, v9, v6, -v10
	v_cvt_f64_f32_e32 v[5:6], v11
	v_cvt_f64_f32_e32 v[9:10], v9
	v_mul_f64 v[5:6], v[5:6], s[2:3]
	v_mul_f64 v[9:10], v[9:10], s[2:3]
	v_cvt_f32_f64_e32 v5, v[5:6]
	v_cvt_f32_f64_e32 v6, v[9:10]
	global_store_dwordx2 v[0:1], v[5:6], off
	global_load_dwordx2 v[5:6], v[138:139], off offset:936
	v_add_co_u32 v0, vcc_lo, v0, s4
	v_add_co_ci_u32_e32 v1, vcc_lo, s5, v1, vcc_lo
	s_waitcnt vmcnt(0)
	;; [unrolled: 31-line block ×3, first 2 shown]
	v_mul_f32_e32 v9, v8, v6
	v_mul_f32_e32 v6, v7, v6
	v_fmac_f32_e32 v9, v7, v5
	v_fma_f32 v7, v5, v8, -v6
	v_cvt_f64_f32_e32 v[5:6], v9
	v_cvt_f64_f32_e32 v[7:8], v7
	v_mul_f64 v[5:6], v[5:6], s[2:3]
	v_mul_f64 v[7:8], v[7:8], s[2:3]
	v_cvt_f32_f64_e32 v5, v[5:6]
	v_cvt_f32_f64_e32 v6, v[7:8]
	global_store_dwordx2 v[0:1], v[5:6], off
	global_load_dwordx2 v[9:10], v[138:139], off offset:1536
	ds_read2_b64 v[5:8], v180 offset0:192 offset1:217
	v_mad_u64_u32 v[0:1], null, 0x190, s8, v[0:1]
	v_add_nc_u32_e32 v1, s0, v1
	s_waitcnt vmcnt(0) lgkmcnt(0)
	v_mul_f32_e32 v11, v6, v10
	v_mul_f32_e32 v10, v5, v10
	v_fmac_f32_e32 v11, v5, v9
	v_fma_f32 v9, v9, v6, -v10
	v_cvt_f64_f32_e32 v[5:6], v11
	v_cvt_f64_f32_e32 v[9:10], v9
	v_mad_u64_u32 v[11:12], null, s8, v149, 0
	v_mad_u64_u32 v[12:13], null, s9, v149, v[12:13]
	v_mul_f64 v[5:6], v[5:6], s[2:3]
	v_mul_f64 v[9:10], v[9:10], s[2:3]
	v_cvt_f32_f64_e32 v5, v[5:6]
	v_cvt_f32_f64_e32 v6, v[9:10]
	v_lshlrev_b64 v[9:10], 3, v[11:12]
	v_add_co_u32 v9, vcc_lo, v2, v9
	v_add_co_ci_u32_e32 v10, vcc_lo, v3, v10, vcc_lo
	global_store_dwordx2 v[9:10], v[5:6], off
	global_load_dwordx2 v[5:6], v[138:139], off offset:1736
	s_waitcnt vmcnt(0)
	v_mul_f32_e32 v9, v8, v6
	v_mul_f32_e32 v6, v7, v6
	v_fmac_f32_e32 v9, v7, v5
	v_fma_f32 v7, v5, v8, -v6
	v_cvt_f64_f32_e32 v[5:6], v9
	v_cvt_f64_f32_e32 v[7:8], v7
	v_mul_f64 v[5:6], v[5:6], s[2:3]
	v_mul_f64 v[7:8], v[7:8], s[2:3]
	v_cvt_f32_f64_e32 v5, v[5:6]
	v_cvt_f32_f64_e32 v6, v[7:8]
	global_store_dwordx2 v[0:1], v[5:6], off
	global_load_dwordx2 v[8:9], v[138:139], off offset:1936
	ds_read2_b64 v[4:7], v4 offset0:114 offset1:139
	v_add_co_u32 v0, vcc_lo, v0, s4
	v_add_co_ci_u32_e32 v1, vcc_lo, s5, v1, vcc_lo
	s_waitcnt vmcnt(0) lgkmcnt(0)
	v_mul_f32_e32 v10, v5, v9
	v_mul_f32_e32 v9, v4, v9
	v_fmac_f32_e32 v10, v4, v8
	v_fma_f32 v8, v8, v5, -v9
	v_cvt_f64_f32_e32 v[4:5], v10
	v_cvt_f64_f32_e32 v[8:9], v8
	v_mul_f64 v[4:5], v[4:5], s[2:3]
	v_mul_f64 v[8:9], v[8:9], s[2:3]
	v_cvt_f32_f64_e32 v4, v[4:5]
	v_cvt_f32_f64_e32 v5, v[8:9]
	global_store_dwordx2 v[0:1], v[4:5], off
	global_load_dwordx2 v[4:5], v[136:137], off offset:88
	v_add_co_u32 v0, vcc_lo, v0, s4
	v_add_co_ci_u32_e32 v1, vcc_lo, s5, v1, vcc_lo
	s_waitcnt vmcnt(0)
	v_mul_f32_e32 v8, v7, v5
	v_mul_f32_e32 v5, v6, v5
	v_fmac_f32_e32 v8, v6, v4
	v_fma_f32 v6, v4, v7, -v5
	v_cvt_f64_f32_e32 v[4:5], v8
	v_cvt_f64_f32_e32 v[6:7], v6
	v_mul_f64 v[4:5], v[4:5], s[2:3]
	v_mul_f64 v[6:7], v[6:7], s[2:3]
	v_cvt_f32_f64_e32 v4, v[4:5]
	v_cvt_f32_f64_e32 v5, v[6:7]
	global_store_dwordx2 v[0:1], v[4:5], off
	global_load_dwordx2 v[8:9], v[136:137], off offset:288
	ds_read2_b64 v[4:7], v36 offset0:36 offset1:61
	v_add_co_u32 v0, vcc_lo, v0, s4
	v_add_co_ci_u32_e32 v1, vcc_lo, s5, v1, vcc_lo
	s_waitcnt vmcnt(0) lgkmcnt(0)
	v_mul_f32_e32 v10, v5, v9
	v_mul_f32_e32 v9, v4, v9
	v_fmac_f32_e32 v10, v4, v8
	v_fma_f32 v8, v8, v5, -v9
	v_cvt_f64_f32_e32 v[4:5], v10
	v_cvt_f64_f32_e32 v[8:9], v8
	v_mul_f64 v[4:5], v[4:5], s[2:3]
	v_mul_f64 v[8:9], v[8:9], s[2:3]
	v_cvt_f32_f64_e32 v4, v[4:5]
	v_cvt_f32_f64_e32 v5, v[8:9]
	global_store_dwordx2 v[0:1], v[4:5], off
	global_load_dwordx2 v[4:5], v[136:137], off offset:488
	v_add_co_u32 v0, vcc_lo, v0, s4
	v_add_co_ci_u32_e32 v1, vcc_lo, s5, v1, vcc_lo
	;; [unrolled: 31-line block ×3, first 2 shown]
	s_waitcnt vmcnt(0)
	v_mul_f32_e32 v8, v7, v5
	v_mul_f32_e32 v5, v6, v5
	v_fmac_f32_e32 v8, v6, v4
	v_fma_f32 v6, v4, v7, -v5
	v_cvt_f64_f32_e32 v[4:5], v8
	v_cvt_f64_f32_e32 v[6:7], v6
	v_mul_f64 v[4:5], v[4:5], s[2:3]
	v_mul_f64 v[6:7], v[6:7], s[2:3]
	v_cvt_f32_f64_e32 v4, v[4:5]
	v_cvt_f32_f64_e32 v5, v[6:7]
	v_lshlrev_b32_e32 v6, 3, v140
	global_store_dwordx2 v[0:1], v[4:5], off
	global_load_dwordx2 v[8:9], v6, s[6:7]
	ds_read2_b64 v[4:7], v36 offset0:136 offset1:161
	v_mad_u64_u32 v[0:1], null, 0x190, s8, v[0:1]
	v_add_nc_u32_e32 v1, s0, v1
	s_waitcnt vmcnt(0) lgkmcnt(0)
	v_mul_f32_e32 v10, v5, v9
	v_mul_f32_e32 v9, v4, v9
	v_fmac_f32_e32 v10, v4, v8
	v_fma_f32 v8, v8, v5, -v9
	v_cvt_f64_f32_e32 v[4:5], v10
	v_cvt_f64_f32_e32 v[8:9], v8
	v_mad_u64_u32 v[10:11], null, s8, v140, 0
	v_mad_u64_u32 v[11:12], null, s9, v140, v[11:12]
	v_mul_f64 v[4:5], v[4:5], s[2:3]
	v_mul_f64 v[8:9], v[8:9], s[2:3]
	v_cvt_f32_f64_e32 v4, v[4:5]
	v_cvt_f32_f64_e32 v5, v[8:9]
	v_lshlrev_b64 v[8:9], 3, v[10:11]
	v_add_co_u32 v2, vcc_lo, v2, v8
	v_add_co_ci_u32_e32 v3, vcc_lo, v3, v9, vcc_lo
	global_store_dwordx2 v[2:3], v[4:5], off
	global_load_dwordx2 v[2:3], v[136:137], off offset:1288
	s_waitcnt vmcnt(0)
	v_mul_f32_e32 v4, v7, v3
	v_mul_f32_e32 v3, v6, v3
	v_fmac_f32_e32 v4, v6, v2
	v_fma_f32 v5, v2, v7, -v3
	v_cvt_f64_f32_e32 v[2:3], v4
	v_cvt_f64_f32_e32 v[4:5], v5
	v_mul_f64 v[2:3], v[2:3], s[2:3]
	v_mul_f64 v[4:5], v[4:5], s[2:3]
	v_cvt_f32_f64_e32 v2, v[2:3]
	v_cvt_f32_f64_e32 v3, v[4:5]
	global_store_dwordx2 v[0:1], v[2:3], off
.LBB0_15:
	s_endpgm
	.section	.rodata,"a",@progbits
	.p2align	6, 0x0
	.amdhsa_kernel bluestein_single_fwd_len425_dim1_sp_op_CI_CI
		.amdhsa_group_segment_fixed_size 10200
		.amdhsa_private_segment_fixed_size 148
		.amdhsa_kernarg_size 104
		.amdhsa_user_sgpr_count 6
		.amdhsa_user_sgpr_private_segment_buffer 1
		.amdhsa_user_sgpr_dispatch_ptr 0
		.amdhsa_user_sgpr_queue_ptr 0
		.amdhsa_user_sgpr_kernarg_segment_ptr 1
		.amdhsa_user_sgpr_dispatch_id 0
		.amdhsa_user_sgpr_flat_scratch_init 0
		.amdhsa_user_sgpr_private_segment_size 0
		.amdhsa_wavefront_size32 1
		.amdhsa_uses_dynamic_stack 0
		.amdhsa_system_sgpr_private_segment_wavefront_offset 1
		.amdhsa_system_sgpr_workgroup_id_x 1
		.amdhsa_system_sgpr_workgroup_id_y 0
		.amdhsa_system_sgpr_workgroup_id_z 0
		.amdhsa_system_sgpr_workgroup_info 0
		.amdhsa_system_vgpr_workitem_id 0
		.amdhsa_next_free_vgpr 256
		.amdhsa_next_free_sgpr 24
		.amdhsa_reserve_vcc 1
		.amdhsa_reserve_flat_scratch 0
		.amdhsa_float_round_mode_32 0
		.amdhsa_float_round_mode_16_64 0
		.amdhsa_float_denorm_mode_32 3
		.amdhsa_float_denorm_mode_16_64 3
		.amdhsa_dx10_clamp 1
		.amdhsa_ieee_mode 1
		.amdhsa_fp16_overflow 0
		.amdhsa_workgroup_processor_mode 1
		.amdhsa_memory_ordered 1
		.amdhsa_forward_progress 0
		.amdhsa_shared_vgpr_count 0
		.amdhsa_exception_fp_ieee_invalid_op 0
		.amdhsa_exception_fp_denorm_src 0
		.amdhsa_exception_fp_ieee_div_zero 0
		.amdhsa_exception_fp_ieee_overflow 0
		.amdhsa_exception_fp_ieee_underflow 0
		.amdhsa_exception_fp_ieee_inexact 0
		.amdhsa_exception_int_div_zero 0
	.end_amdhsa_kernel
	.text
.Lfunc_end0:
	.size	bluestein_single_fwd_len425_dim1_sp_op_CI_CI, .Lfunc_end0-bluestein_single_fwd_len425_dim1_sp_op_CI_CI
                                        ; -- End function
	.section	.AMDGPU.csdata,"",@progbits
; Kernel info:
; codeLenInByte = 38040
; NumSgprs: 26
; NumVgprs: 256
; ScratchSize: 148
; MemoryBound: 0
; FloatMode: 240
; IeeeMode: 1
; LDSByteSize: 10200 bytes/workgroup (compile time only)
; SGPRBlocks: 3
; VGPRBlocks: 31
; NumSGPRsForWavesPerEU: 26
; NumVGPRsForWavesPerEU: 256
; Occupancy: 4
; WaveLimiterHint : 1
; COMPUTE_PGM_RSRC2:SCRATCH_EN: 1
; COMPUTE_PGM_RSRC2:USER_SGPR: 6
; COMPUTE_PGM_RSRC2:TRAP_HANDLER: 0
; COMPUTE_PGM_RSRC2:TGID_X_EN: 1
; COMPUTE_PGM_RSRC2:TGID_Y_EN: 0
; COMPUTE_PGM_RSRC2:TGID_Z_EN: 0
; COMPUTE_PGM_RSRC2:TIDIG_COMP_CNT: 0
	.text
	.p2alignl 6, 3214868480
	.fill 48, 4, 3214868480
	.type	__hip_cuid_40846845b0c9dcf6,@object ; @__hip_cuid_40846845b0c9dcf6
	.section	.bss,"aw",@nobits
	.globl	__hip_cuid_40846845b0c9dcf6
__hip_cuid_40846845b0c9dcf6:
	.byte	0                               ; 0x0
	.size	__hip_cuid_40846845b0c9dcf6, 1

	.ident	"AMD clang version 19.0.0git (https://github.com/RadeonOpenCompute/llvm-project roc-6.4.0 25133 c7fe45cf4b819c5991fe208aaa96edf142730f1d)"
	.section	".note.GNU-stack","",@progbits
	.addrsig
	.addrsig_sym __hip_cuid_40846845b0c9dcf6
	.amdgpu_metadata
---
amdhsa.kernels:
  - .args:
      - .actual_access:  read_only
        .address_space:  global
        .offset:         0
        .size:           8
        .value_kind:     global_buffer
      - .actual_access:  read_only
        .address_space:  global
        .offset:         8
        .size:           8
        .value_kind:     global_buffer
      - .actual_access:  read_only
        .address_space:  global
        .offset:         16
        .size:           8
        .value_kind:     global_buffer
      - .actual_access:  read_only
        .address_space:  global
        .offset:         24
        .size:           8
        .value_kind:     global_buffer
      - .actual_access:  read_only
        .address_space:  global
        .offset:         32
        .size:           8
        .value_kind:     global_buffer
      - .offset:         40
        .size:           8
        .value_kind:     by_value
      - .address_space:  global
        .offset:         48
        .size:           8
        .value_kind:     global_buffer
      - .address_space:  global
        .offset:         56
        .size:           8
        .value_kind:     global_buffer
      - .address_space:  global
        .offset:         64
        .size:           8
        .value_kind:     global_buffer
      - .address_space:  global
        .offset:         72
        .size:           8
        .value_kind:     global_buffer
      - .offset:         80
        .size:           4
        .value_kind:     by_value
      - .address_space:  global
        .offset:         88
        .size:           8
        .value_kind:     global_buffer
      - .address_space:  global
        .offset:         96
        .size:           8
        .value_kind:     global_buffer
    .group_segment_fixed_size: 10200
    .kernarg_segment_align: 8
    .kernarg_segment_size: 104
    .language:       OpenCL C
    .language_version:
      - 2
      - 0
    .max_flat_workgroup_size: 51
    .name:           bluestein_single_fwd_len425_dim1_sp_op_CI_CI
    .private_segment_fixed_size: 148
    .sgpr_count:     26
    .sgpr_spill_count: 0
    .symbol:         bluestein_single_fwd_len425_dim1_sp_op_CI_CI.kd
    .uniform_work_group_size: 1
    .uses_dynamic_stack: false
    .vgpr_count:     256
    .vgpr_spill_count: 36
    .wavefront_size: 32
    .workgroup_processor_mode: 1
amdhsa.target:   amdgcn-amd-amdhsa--gfx1030
amdhsa.version:
  - 1
  - 2
...

	.end_amdgpu_metadata
